;; amdgpu-corpus repo=ROCm/rocFFT kind=compiled arch=gfx906 opt=O3
	.text
	.amdgcn_target "amdgcn-amd-amdhsa--gfx906"
	.amdhsa_code_object_version 6
	.protected	fft_rtc_back_len476_factors_17_2_7_2_wgs_102_tpt_34_halfLds_half_ip_CI_unitstride_sbrr_C2R_dirReg ; -- Begin function fft_rtc_back_len476_factors_17_2_7_2_wgs_102_tpt_34_halfLds_half_ip_CI_unitstride_sbrr_C2R_dirReg
	.globl	fft_rtc_back_len476_factors_17_2_7_2_wgs_102_tpt_34_halfLds_half_ip_CI_unitstride_sbrr_C2R_dirReg
	.p2align	8
	.type	fft_rtc_back_len476_factors_17_2_7_2_wgs_102_tpt_34_halfLds_half_ip_CI_unitstride_sbrr_C2R_dirReg,@function
fft_rtc_back_len476_factors_17_2_7_2_wgs_102_tpt_34_halfLds_half_ip_CI_unitstride_sbrr_C2R_dirReg: ; @fft_rtc_back_len476_factors_17_2_7_2_wgs_102_tpt_34_halfLds_half_ip_CI_unitstride_sbrr_C2R_dirReg
; %bb.0:
	s_load_dwordx2 s[2:3], s[4:5], 0x50
	s_load_dwordx4 s[8:11], s[4:5], 0x0
	s_load_dwordx2 s[12:13], s[4:5], 0x18
	v_mul_u32_u24_e32 v1, 0x788, v0
	v_lshrrev_b32_e32 v1, 16, v1
	v_mad_u64_u32 v[1:2], s[0:1], s6, 3, v[1:2]
	v_mov_b32_e32 v5, 0
	s_waitcnt lgkmcnt(0)
	v_cmp_lt_u64_e64 s[0:1], s[10:11], 2
	v_mov_b32_e32 v2, v5
	v_mov_b32_e32 v3, 0
	;; [unrolled: 1-line block ×3, first 2 shown]
	s_and_b64 vcc, exec, s[0:1]
	v_mov_b32_e32 v4, 0
	v_mov_b32_e32 v9, v1
	s_cbranch_vccnz .LBB0_8
; %bb.1:
	s_load_dwordx2 s[0:1], s[4:5], 0x10
	s_add_u32 s6, s12, 8
	s_addc_u32 s7, s13, 0
	v_mov_b32_e32 v3, 0
	v_mov_b32_e32 v8, v2
	s_waitcnt lgkmcnt(0)
	s_add_u32 s16, s0, 8
	s_mov_b64 s[14:15], 1
	v_mov_b32_e32 v4, 0
	s_addc_u32 s17, s1, 0
	v_mov_b32_e32 v7, v1
.LBB0_2:                                ; =>This Inner Loop Header: Depth=1
	s_load_dwordx2 s[18:19], s[16:17], 0x0
                                        ; implicit-def: $vgpr9_vgpr10
	s_waitcnt lgkmcnt(0)
	v_or_b32_e32 v6, s19, v8
	v_cmp_ne_u64_e32 vcc, 0, v[5:6]
	s_and_saveexec_b64 s[0:1], vcc
	s_xor_b64 s[20:21], exec, s[0:1]
	s_cbranch_execz .LBB0_4
; %bb.3:                                ;   in Loop: Header=BB0_2 Depth=1
	v_cvt_f32_u32_e32 v2, s18
	v_cvt_f32_u32_e32 v6, s19
	s_sub_u32 s0, 0, s18
	s_subb_u32 s1, 0, s19
	v_mac_f32_e32 v2, 0x4f800000, v6
	v_rcp_f32_e32 v2, v2
	v_mul_f32_e32 v2, 0x5f7ffffc, v2
	v_mul_f32_e32 v6, 0x2f800000, v2
	v_trunc_f32_e32 v6, v6
	v_mac_f32_e32 v2, 0xcf800000, v6
	v_cvt_u32_f32_e32 v6, v6
	v_cvt_u32_f32_e32 v2, v2
	v_mul_lo_u32 v9, s0, v6
	v_mul_hi_u32 v10, s0, v2
	v_mul_lo_u32 v12, s1, v2
	v_mul_lo_u32 v11, s0, v2
	v_add_u32_e32 v9, v10, v9
	v_add_u32_e32 v9, v9, v12
	v_mul_hi_u32 v10, v2, v11
	v_mul_lo_u32 v12, v2, v9
	v_mul_hi_u32 v14, v2, v9
	v_mul_hi_u32 v13, v6, v11
	v_mul_lo_u32 v11, v6, v11
	v_mul_hi_u32 v15, v6, v9
	v_add_co_u32_e32 v10, vcc, v10, v12
	v_addc_co_u32_e32 v12, vcc, 0, v14, vcc
	v_mul_lo_u32 v9, v6, v9
	v_add_co_u32_e32 v10, vcc, v10, v11
	v_addc_co_u32_e32 v10, vcc, v12, v13, vcc
	v_addc_co_u32_e32 v11, vcc, 0, v15, vcc
	v_add_co_u32_e32 v9, vcc, v10, v9
	v_addc_co_u32_e32 v10, vcc, 0, v11, vcc
	v_add_co_u32_e32 v2, vcc, v2, v9
	v_addc_co_u32_e32 v6, vcc, v6, v10, vcc
	v_mul_lo_u32 v9, s0, v6
	v_mul_hi_u32 v10, s0, v2
	v_mul_lo_u32 v11, s1, v2
	v_mul_lo_u32 v12, s0, v2
	v_add_u32_e32 v9, v10, v9
	v_add_u32_e32 v9, v9, v11
	v_mul_lo_u32 v13, v2, v9
	v_mul_hi_u32 v14, v2, v12
	v_mul_hi_u32 v15, v2, v9
	;; [unrolled: 1-line block ×3, first 2 shown]
	v_mul_lo_u32 v12, v6, v12
	v_mul_hi_u32 v10, v6, v9
	v_add_co_u32_e32 v13, vcc, v14, v13
	v_addc_co_u32_e32 v14, vcc, 0, v15, vcc
	v_mul_lo_u32 v9, v6, v9
	v_add_co_u32_e32 v12, vcc, v13, v12
	v_addc_co_u32_e32 v11, vcc, v14, v11, vcc
	v_addc_co_u32_e32 v10, vcc, 0, v10, vcc
	v_add_co_u32_e32 v9, vcc, v11, v9
	v_addc_co_u32_e32 v10, vcc, 0, v10, vcc
	v_add_co_u32_e32 v2, vcc, v2, v9
	v_addc_co_u32_e32 v6, vcc, v6, v10, vcc
	v_mad_u64_u32 v[9:10], s[0:1], v7, v6, 0
	v_mul_hi_u32 v11, v7, v2
	v_add_co_u32_e32 v13, vcc, v11, v9
	v_addc_co_u32_e32 v14, vcc, 0, v10, vcc
	v_mad_u64_u32 v[9:10], s[0:1], v8, v2, 0
	v_mad_u64_u32 v[11:12], s[0:1], v8, v6, 0
	v_add_co_u32_e32 v2, vcc, v13, v9
	v_addc_co_u32_e32 v2, vcc, v14, v10, vcc
	v_addc_co_u32_e32 v6, vcc, 0, v12, vcc
	v_add_co_u32_e32 v2, vcc, v2, v11
	v_addc_co_u32_e32 v6, vcc, 0, v6, vcc
	v_mul_lo_u32 v11, s19, v2
	v_mul_lo_u32 v12, s18, v6
	v_mad_u64_u32 v[9:10], s[0:1], s18, v2, 0
	v_add3_u32 v10, v10, v12, v11
	v_sub_u32_e32 v11, v8, v10
	v_mov_b32_e32 v12, s19
	v_sub_co_u32_e32 v9, vcc, v7, v9
	v_subb_co_u32_e64 v11, s[0:1], v11, v12, vcc
	v_subrev_co_u32_e64 v12, s[0:1], s18, v9
	v_subbrev_co_u32_e64 v11, s[0:1], 0, v11, s[0:1]
	v_cmp_le_u32_e64 s[0:1], s19, v11
	v_cndmask_b32_e64 v13, 0, -1, s[0:1]
	v_cmp_le_u32_e64 s[0:1], s18, v12
	v_cndmask_b32_e64 v12, 0, -1, s[0:1]
	v_cmp_eq_u32_e64 s[0:1], s19, v11
	v_cndmask_b32_e64 v11, v13, v12, s[0:1]
	v_add_co_u32_e64 v12, s[0:1], 2, v2
	v_addc_co_u32_e64 v13, s[0:1], 0, v6, s[0:1]
	v_add_co_u32_e64 v14, s[0:1], 1, v2
	v_addc_co_u32_e64 v15, s[0:1], 0, v6, s[0:1]
	v_subb_co_u32_e32 v10, vcc, v8, v10, vcc
	v_cmp_ne_u32_e64 s[0:1], 0, v11
	v_cmp_le_u32_e32 vcc, s19, v10
	v_cndmask_b32_e64 v11, v15, v13, s[0:1]
	v_cndmask_b32_e64 v13, 0, -1, vcc
	v_cmp_le_u32_e32 vcc, s18, v9
	v_cndmask_b32_e64 v9, 0, -1, vcc
	v_cmp_eq_u32_e32 vcc, s19, v10
	v_cndmask_b32_e32 v9, v13, v9, vcc
	v_cmp_ne_u32_e32 vcc, 0, v9
	v_cndmask_b32_e32 v10, v6, v11, vcc
	v_cndmask_b32_e64 v6, v14, v12, s[0:1]
	v_cndmask_b32_e32 v9, v2, v6, vcc
.LBB0_4:                                ;   in Loop: Header=BB0_2 Depth=1
	s_andn2_saveexec_b64 s[0:1], s[20:21]
	s_cbranch_execz .LBB0_6
; %bb.5:                                ;   in Loop: Header=BB0_2 Depth=1
	v_cvt_f32_u32_e32 v2, s18
	s_sub_i32 s20, 0, s18
	v_rcp_iflag_f32_e32 v2, v2
	v_mul_f32_e32 v2, 0x4f7ffffe, v2
	v_cvt_u32_f32_e32 v2, v2
	v_mul_lo_u32 v6, s20, v2
	v_mul_hi_u32 v6, v2, v6
	v_add_u32_e32 v2, v2, v6
	v_mul_hi_u32 v2, v7, v2
	v_mul_lo_u32 v6, v2, s18
	v_add_u32_e32 v9, 1, v2
	v_sub_u32_e32 v6, v7, v6
	v_subrev_u32_e32 v10, s18, v6
	v_cmp_le_u32_e32 vcc, s18, v6
	v_cndmask_b32_e32 v6, v6, v10, vcc
	v_cndmask_b32_e32 v2, v2, v9, vcc
	v_add_u32_e32 v9, 1, v2
	v_cmp_le_u32_e32 vcc, s18, v6
	v_cndmask_b32_e32 v9, v2, v9, vcc
	v_mov_b32_e32 v10, v5
.LBB0_6:                                ;   in Loop: Header=BB0_2 Depth=1
	s_or_b64 exec, exec, s[0:1]
	v_mul_lo_u32 v2, v10, s18
	v_mul_lo_u32 v6, v9, s19
	v_mad_u64_u32 v[11:12], s[0:1], v9, s18, 0
	s_load_dwordx2 s[0:1], s[6:7], 0x0
	s_add_u32 s14, s14, 1
	v_add3_u32 v2, v12, v6, v2
	v_sub_co_u32_e32 v6, vcc, v7, v11
	v_subb_co_u32_e32 v2, vcc, v8, v2, vcc
	s_waitcnt lgkmcnt(0)
	v_mul_lo_u32 v2, s0, v2
	v_mul_lo_u32 v7, s1, v6
	v_mad_u64_u32 v[3:4], s[0:1], s0, v6, v[3:4]
	s_addc_u32 s15, s15, 0
	s_add_u32 s6, s6, 8
	v_add3_u32 v4, v7, v4, v2
	v_mov_b32_e32 v6, s10
	v_mov_b32_e32 v7, s11
	s_addc_u32 s7, s7, 0
	v_cmp_ge_u64_e32 vcc, s[14:15], v[6:7]
	s_add_u32 s16, s16, 8
	s_addc_u32 s17, s17, 0
	s_cbranch_vccnz .LBB0_8
; %bb.7:                                ;   in Loop: Header=BB0_2 Depth=1
	v_mov_b32_e32 v7, v9
	v_mov_b32_e32 v8, v10
	s_branch .LBB0_2
.LBB0_8:
	s_lshl_b64 s[0:1], s[10:11], 3
	s_add_u32 s0, s12, s0
	s_addc_u32 s1, s13, s1
	s_load_dwordx2 s[0:1], s[0:1], 0x0
	s_mov_b32 s6, 0xaaaaaaab
	v_mul_hi_u32 v5, v1, s6
	s_waitcnt lgkmcnt(0)
	v_mul_lo_u32 v6, s0, v10
	v_mul_lo_u32 v7, s1, v9
	v_mad_u64_u32 v[2:3], s[0:1], s0, v9, v[3:4]
	s_load_dwordx2 s[0:1], s[4:5], 0x20
	s_mov_b32 s4, 0x7878788
	v_lshrrev_b32_e32 v4, 1, v5
	v_mul_hi_u32 v5, v0, s4
	v_lshl_add_u32 v4, v4, 1, v4
	v_sub_u32_e32 v1, v1, v4
	v_add3_u32 v3, v7, v3, v6
	v_mul_u32_u24_e32 v8, 0x1dd, v1
	v_mul_u32_u24_e32 v1, 34, v5
	s_waitcnt lgkmcnt(0)
	v_cmp_gt_u64_e32 vcc, s[0:1], v[9:10]
	v_sub_u32_e32 v4, v0, v1
	v_lshlrev_b64 v[2:3], 2, v[2:3]
	v_mov_b32_e32 v5, 0
	v_lshlrev_b32_e32 v24, 2, v8
	v_mov_b32_e32 v0, v4
	s_and_saveexec_b64 s[4:5], vcc
	s_cbranch_execz .LBB0_12
; %bb.9:
	v_mov_b32_e32 v1, s3
	v_add_co_u32_e64 v0, s[0:1], s2, v2
	v_lshlrev_b64 v[6:7], 2, v[4:5]
	v_addc_co_u32_e64 v1, s[0:1], v1, v3, s[0:1]
	v_add_co_u32_e64 v6, s[0:1], v0, v6
	v_addc_co_u32_e64 v7, s[0:1], v1, v7, s[0:1]
	global_load_dword v9, v[6:7], off
	global_load_dword v10, v[6:7], off offset:136
	global_load_dword v11, v[6:7], off offset:272
	;; [unrolled: 1-line block ×13, first 2 shown]
	v_lshlrev_b32_e32 v6, 2, v4
	v_add3_u32 v7, 0, v24, v6
	v_add_u32_e32 v6, 0x400, v7
	v_cmp_eq_u32_e64 s[0:1], 33, v4
	s_waitcnt vmcnt(12)
	ds_write2_b32 v7, v9, v10 offset1:34
	s_waitcnt vmcnt(10)
	ds_write2_b32 v7, v11, v12 offset0:68 offset1:102
	s_waitcnt vmcnt(8)
	ds_write2_b32 v7, v13, v14 offset0:136 offset1:170
	;; [unrolled: 2-line block ×6, first 2 shown]
	v_mov_b32_e32 v6, v5
	v_mov_b32_e32 v5, v4
	s_and_saveexec_b64 s[6:7], s[0:1]
	s_cbranch_execz .LBB0_11
; %bb.10:
	global_load_dword v0, v[0:1], off offset:1904
	v_mov_b32_e32 v5, 33
	v_mov_b32_e32 v6, 0
	;; [unrolled: 1-line block ×3, first 2 shown]
	s_waitcnt vmcnt(0)
	ds_write_b32 v7, v0 offset:1772
.LBB0_11:
	s_or_b64 exec, exec, s[6:7]
	v_mov_b32_e32 v0, v4
	v_mov_b32_e32 v4, v5
	;; [unrolled: 1-line block ×3, first 2 shown]
.LBB0_12:
	s_or_b64 exec, exec, s[4:5]
	v_lshl_add_u32 v25, v8, 2, 0
	v_lshlrev_b32_e32 v1, 2, v0
	v_add_u32_e32 v26, v25, v1
	s_waitcnt lgkmcnt(0)
	s_barrier
	v_sub_u32_e32 v9, v25, v1
	ds_read_u16 v1, v26
	ds_read_u16 v6, v9 offset:1904
	v_lshlrev_b64 v[4:5], 2, v[4:5]
	v_cmp_ne_u32_e64 s[0:1], 0, v0
	s_waitcnt lgkmcnt(0)
	v_add_f16_e32 v10, v6, v1
	v_sub_f16_e32 v11, v1, v6
	s_and_saveexec_b64 s[4:5], s[0:1]
	s_xor_b64 s[4:5], exec, s[4:5]
	s_cbranch_execz .LBB0_14
; %bb.13:
	v_mov_b32_e32 v7, s9
	v_add_co_u32_e64 v10, s[0:1], s8, v4
	v_addc_co_u32_e64 v11, s[0:1], v7, v5, s[0:1]
	global_load_dword v7, v[10:11], off offset:1836
	ds_read_u16 v10, v9 offset:1906
	ds_read_u16 v11, v26 offset:2
	v_add_f16_e32 v12, v6, v1
	v_sub_f16_e32 v1, v1, v6
	s_waitcnt lgkmcnt(0)
	v_add_f16_e32 v6, v10, v11
	v_sub_f16_e32 v10, v11, v10
	s_waitcnt vmcnt(0)
	v_lshrrev_b32_e32 v11, 16, v7
	v_fma_f16 v13, v1, v11, v12
	v_fma_f16 v14, v6, v11, v10
	v_fma_f16 v12, -v1, v11, v12
	v_fma_f16 v15, v6, v11, -v10
	v_fma_f16 v10, -v7, v6, v13
	v_fma_f16 v11, v1, v7, v14
	v_fma_f16 v6, v7, v6, v12
	;; [unrolled: 1-line block ×3, first 2 shown]
	v_pack_b32_f16 v1, v6, v1
	ds_write_b32 v9, v1 offset:1904
.LBB0_14:
	s_andn2_saveexec_b64 s[0:1], s[4:5]
	s_cbranch_execz .LBB0_16
; %bb.15:
	ds_read_b32 v1, v25 offset:952
	s_mov_b32 s4, 0xc0004000
	s_waitcnt lgkmcnt(0)
	v_pk_mul_f16 v1, v1, s4
	ds_write_b32 v25, v1 offset:952
.LBB0_16:
	s_or_b64 exec, exec, s[0:1]
	v_mov_b32_e32 v1, 0
	s_add_u32 s0, s8, 0x72c
	v_lshlrev_b64 v[6:7], 2, v[0:1]
	s_addc_u32 s1, s9, 0
	v_mov_b32_e32 v13, s1
	v_add_co_u32_e64 v12, s[0:1], s0, v6
	v_addc_co_u32_e64 v13, s[0:1], v13, v7, s[0:1]
	global_load_dword v14, v[12:13], off offset:136
	global_load_dword v15, v[12:13], off offset:272
	;; [unrolled: 1-line block ×4, first 2 shown]
	s_mov_b32 s0, 0x5040100
	v_perm_b32 v10, v11, v10, s0
	ds_write_b32 v26, v10
	ds_read_b32 v10, v26 offset:136
	ds_read_b32 v11, v9 offset:1768
	global_load_dword v18, v[12:13], off offset:680
	global_load_dword v19, v[12:13], off offset:816
	v_lshl_add_u32 v28, v0, 2, 0
	v_lshl_add_u32 v27, v8, 2, v28
	v_add_u32_e32 v30, 0x200, v27
	s_waitcnt lgkmcnt(0)
	v_add_f16_e32 v12, v10, v11
	v_add_f16_sdwa v13, v11, v10 dst_sel:DWORD dst_unused:UNUSED_PAD src0_sel:WORD_1 src1_sel:WORD_1
	v_sub_f16_e32 v20, v10, v11
	v_sub_f16_sdwa v10, v10, v11 dst_sel:DWORD dst_unused:UNUSED_PAD src0_sel:WORD_1 src1_sel:WORD_1
	v_add_u32_e32 v29, 0x400, v27
	v_cmp_gt_u32_e64 s[0:1], 28, v0
	s_waitcnt vmcnt(5)
	v_lshrrev_b32_e32 v11, 16, v14
	v_fma_f16 v21, v20, v11, v12
	v_fma_f16 v22, v13, v11, v10
	v_fma_f16 v12, -v20, v11, v12
	v_fma_f16 v10, v13, v11, -v10
	v_fma_f16 v11, -v14, v13, v21
	v_fma_f16 v21, v20, v14, v22
	v_fma_f16 v12, v14, v13, v12
	v_fma_f16 v10, v20, v14, v10
	v_pack_b32_f16 v11, v11, v21
	v_pack_b32_f16 v10, v12, v10
	ds_write_b32 v26, v11 offset:136
	ds_write_b32 v9, v10 offset:1768
	ds_read_b32 v10, v26 offset:272
	ds_read_b32 v11, v9 offset:1632
	s_waitcnt vmcnt(4)
	v_lshrrev_b32_e32 v12, 16, v15
	s_waitcnt lgkmcnt(0)
	v_add_f16_e32 v13, v10, v11
	v_add_f16_sdwa v14, v11, v10 dst_sel:DWORD dst_unused:UNUSED_PAD src0_sel:WORD_1 src1_sel:WORD_1
	v_sub_f16_e32 v20, v10, v11
	v_sub_f16_sdwa v10, v10, v11 dst_sel:DWORD dst_unused:UNUSED_PAD src0_sel:WORD_1 src1_sel:WORD_1
	v_fma_f16 v11, v20, v12, v13
	v_fma_f16 v21, v14, v12, v10
	v_fma_f16 v13, -v20, v12, v13
	v_fma_f16 v10, v14, v12, -v10
	v_fma_f16 v11, -v15, v14, v11
	v_fma_f16 v12, v20, v15, v21
	v_fma_f16 v13, v15, v14, v13
	v_fma_f16 v10, v20, v15, v10
	v_pack_b32_f16 v11, v11, v12
	v_pack_b32_f16 v10, v13, v10
	ds_write_b32 v26, v11 offset:272
	ds_write_b32 v9, v10 offset:1632
	ds_read_b32 v10, v26 offset:408
	ds_read_b32 v11, v9 offset:1496
	s_waitcnt vmcnt(3)
	v_lshrrev_b32_e32 v12, 16, v16
	s_waitcnt lgkmcnt(0)
	v_add_f16_e32 v13, v10, v11
	v_add_f16_sdwa v14, v11, v10 dst_sel:DWORD dst_unused:UNUSED_PAD src0_sel:WORD_1 src1_sel:WORD_1
	v_sub_f16_e32 v15, v10, v11
	v_sub_f16_sdwa v10, v10, v11 dst_sel:DWORD dst_unused:UNUSED_PAD src0_sel:WORD_1 src1_sel:WORD_1
	;; [unrolled: 21-line block ×5, first 2 shown]
	v_fma_f16 v11, v15, v12, v13
	v_fma_f16 v16, v14, v12, v10
	v_fma_f16 v13, -v15, v12, v13
	v_fma_f16 v10, v14, v12, -v10
	v_fma_f16 v11, -v19, v14, v11
	v_fma_f16 v12, v15, v19, v16
	v_fma_f16 v13, v19, v14, v13
	;; [unrolled: 1-line block ×3, first 2 shown]
	v_pack_b32_f16 v11, v11, v12
	v_pack_b32_f16 v10, v13, v10
	ds_write_b32 v26, v11 offset:816
	ds_write_b32 v9, v10 offset:1088
	s_waitcnt lgkmcnt(0)
	s_barrier
	s_barrier
	ds_read2_b32 v[20:21], v27 offset0:28 offset1:56
	ds_read_b32 v31, v26
	ds_read2_b32 v[16:17], v27 offset0:84 offset1:112
	ds_read2_b32 v[12:13], v27 offset0:140 offset1:168
	ds_read2_b32 v[8:9], v27 offset0:196 offset1:224
	ds_read2_b32 v[10:11], v30 offset0:124 offset1:152
	ds_read2_b32 v[14:15], v29 offset0:52 offset1:80
	ds_read2_b32 v[18:19], v29 offset0:108 offset1:136
	ds_read2_b32 v[22:23], v29 offset0:164 offset1:192
	s_waitcnt lgkmcnt(0)
	s_barrier
	s_and_saveexec_b64 s[4:5], s[0:1]
	s_cbranch_execz .LBB0_18
; %bb.17:
	v_pk_add_f16 v32, v31, v20
	v_pk_add_f16 v32, v32, v21
	;; [unrolled: 1-line block ×16, first 2 shown]
	v_pk_add_f16 v32, v20, v23 neg_lo:[0,1] neg_hi:[0,1]
	v_pk_add_f16 v23, v23, v20
	v_mul_f16_e32 v47, 0xbbf7, v32
	v_lshrrev_b32_e32 v48, 16, v23
	s_movk_i32 s1, 0x2de8
	v_fma_f16 v20, v48, s1, v47
	v_add_f16_sdwa v33, v31, v20 dst_sel:DWORD dst_unused:UNUSED_PAD src0_sel:WORD_1 src1_sel:DWORD
	v_pk_add_f16 v20, v21, v22 neg_lo:[0,1] neg_hi:[0,1]
	v_pk_add_f16 v22, v22, v21
	v_mul_f16_e32 v50, 0xb1e1, v20
	v_lshrrev_b32_e32 v49, 16, v22
	s_mov_b32 s11, 0xbbdd
	v_fma_f16 v21, v49, s11, v50
	v_add_f16_e32 v33, v21, v33
	v_pk_add_f16 v21, v16, v19 neg_lo:[0,1] neg_hi:[0,1]
	v_pk_add_f16 v19, v19, v16
	v_mul_f16_e32 v53, 0x3bb2, v21
	v_lshrrev_b32_e32 v51, 16, v19
	s_mov_b32 s10, 0xb461
	v_fma_f16 v16, v51, s10, v53
	v_add_f16_e32 v33, v16, v33
	v_pk_add_f16 v16, v17, v18 neg_lo:[0,1] neg_hi:[0,1]
	v_pk_add_f16 v18, v18, v17
	v_mul_f16_e32 v54, 0x35c8, v16
	v_lshrrev_b32_e32 v52, 16, v18
	s_movk_i32 s13, 0x3b76
	v_fma_f16 v17, v52, s13, v54
	v_add_f16_e32 v33, v17, v33
	v_pk_add_f16 v17, v12, v15 neg_lo:[0,1] neg_hi:[0,1]
	v_pk_add_f16 v15, v15, v12
	v_mul_f16_e32 v55, 0xbb29, v17
	v_lshrrev_b32_e32 v56, 16, v15
	s_movk_i32 s14, 0x3722
	v_fma_f16 v12, v56, s14, v55
	v_add_f16_e32 v34, v12, v33
	v_pk_add_f16 v12, v13, v14 neg_lo:[0,1] neg_hi:[0,1]
	v_pk_add_f16 v33, v14, v13
	v_mul_f16_e32 v57, 0xb836, v12
	v_lshrrev_b32_e32 v58, 16, v33
	s_mov_b32 s16, 0xbacd
	v_fma_f16 v13, v58, s16, v57
	v_add_f16_e32 v14, v13, v34
	v_pk_add_f16 v13, v8, v11 neg_lo:[0,1] neg_hi:[0,1]
	v_pk_add_f16 v34, v11, v8
	v_mul_f16_e32 v59, 0x3a62, v13
	v_lshrrev_b32_e32 v60, 16, v34
	s_mov_b32 s17, 0xb8d2
	v_fma_f16 v8, v60, s17, v59
	v_add_f16_e32 v8, v8, v14
	v_pk_add_f16 v14, v9, v10 neg_lo:[0,1] neg_hi:[0,1]
	v_pk_add_f16 v35, v10, v9
	s_mov_b32 s22, 0xbbf7
	v_mul_f16_e32 v61, 0x3964, v14
	v_lshrrev_b32_e32 v62, 16, v35
	s_movk_i32 s19, 0x39e9
	s_mov_b32 s0, 0xb1e1
	v_fma_f16 v9, v62, s19, v61
	v_mul_f16_sdwa v63, v32, s22 dst_sel:DWORD dst_unused:UNUSED_PAD src0_sel:WORD_1 src1_sel:DWORD
	s_movk_i32 s23, 0x3bb2
	v_add_f16_e32 v8, v9, v8
	v_fma_f16 v9, v23, s1, -v63
	v_mul_f16_sdwa v64, v20, s0 dst_sel:DWORD dst_unused:UNUSED_PAD src0_sel:WORD_1 src1_sel:DWORD
	s_movk_i32 s6, 0x35c8
	v_add_f16_e32 v9, v31, v9
	v_fma_f16 v10, v22, s11, -v64
	v_mul_f16_sdwa v65, v21, s23 dst_sel:DWORD dst_unused:UNUSED_PAD src0_sel:WORD_1 src1_sel:DWORD
	s_mov_b32 s24, 0xbb29
	v_add_f16_e32 v9, v10, v9
	v_fma_f16 v10, v19, s10, -v65
	v_mul_f16_sdwa v66, v16, s6 dst_sel:DWORD dst_unused:UNUSED_PAD src0_sel:WORD_1 src1_sel:DWORD
	s_mov_b32 s7, 0xb836
	v_add_f16_e32 v9, v10, v9
	v_fma_f16 v10, v18, s13, -v66
	v_mul_f16_sdwa v67, v17, s24 dst_sel:DWORD dst_unused:UNUSED_PAD src0_sel:WORD_1 src1_sel:DWORD
	s_movk_i32 s26, 0x3a62
	v_add_f16_e32 v9, v10, v9
	v_fma_f16 v10, v15, s14, -v67
	v_mul_f16_sdwa v68, v12, s7 dst_sel:DWORD dst_unused:UNUSED_PAD src0_sel:WORD_1 src1_sel:DWORD
	s_movk_i32 s12, 0x3964
	v_add_f16_e32 v9, v10, v9
	v_fma_f16 v10, v33, s16, -v68
	v_mul_f16_sdwa v69, v13, s26 dst_sel:DWORD dst_unused:UNUSED_PAD src0_sel:WORD_1 src1_sel:DWORD
	v_add_f16_e32 v9, v10, v9
	v_fma_f16 v10, v34, s17, -v69
	v_mul_f16_sdwa v70, v14, s12 dst_sel:DWORD dst_unused:UNUSED_PAD src0_sel:WORD_1 src1_sel:DWORD
	v_add_f16_e32 v9, v10, v9
	v_fma_f16 v10, v35, s19, -v70
	v_mul_f16_e32 v45, 0xbbb2, v32
	v_add_f16_e32 v9, v10, v9
	v_fma_f16 v10, v48, s10, v45
	v_mul_f16_e32 v46, 0x3836, v20
	v_add_f16_sdwa v10, v31, v10 dst_sel:DWORD dst_unused:UNUSED_PAD src0_sel:WORD_1 src1_sel:DWORD
	v_fma_f16 v11, v49, s16, v46
	v_mul_f16_e32 v71, 0x3964, v21
	v_add_f16_e32 v10, v11, v10
	v_fma_f16 v11, v51, s19, v71
	v_mul_f16_e32 v72, 0xbb29, v16
	v_add_f16_e32 v10, v11, v10
	;; [unrolled: 3-line block ×4, first 2 shown]
	v_fma_f16 v11, v58, s1, v74
	v_mul_f16_e32 v75, 0xb5c8, v13
	s_mov_b32 s15, 0xbbb2
	v_add_f16_e32 v10, v11, v10
	v_fma_f16 v11, v60, s13, v75
	v_mul_f16_e32 v76, 0xba62, v14
	s_movk_i32 s25, 0x3836
	v_add_f16_e32 v10, v11, v10
	v_fma_f16 v11, v62, s17, v76
	v_mul_f16_sdwa v77, v32, s15 dst_sel:DWORD dst_unused:UNUSED_PAD src0_sel:WORD_1 src1_sel:DWORD
	v_add_f16_e32 v10, v11, v10
	v_fma_f16 v11, v23, s10, -v77
	v_mul_f16_sdwa v78, v20, s25 dst_sel:DWORD dst_unused:UNUSED_PAD src0_sel:WORD_1 src1_sel:DWORD
	v_add_f16_e32 v11, v31, v11
	v_fma_f16 v36, v22, s16, -v78
	;; [unrolled: 3-line block ×3, first 2 shown]
	v_mul_f16_sdwa v80, v16, s24 dst_sel:DWORD dst_unused:UNUSED_PAD src0_sel:WORD_1 src1_sel:DWORD
	s_movk_i32 s18, 0x3bf7
	v_add_f16_e32 v11, v36, v11
	v_fma_f16 v36, v18, s14, -v80
	v_mul_f16_sdwa v81, v17, s0 dst_sel:DWORD dst_unused:UNUSED_PAD src0_sel:WORD_1 src1_sel:DWORD
	s_mov_b32 s27, 0xb5c8
	v_add_f16_e32 v11, v36, v11
	v_fma_f16 v36, v15, s11, -v81
	v_mul_f16_sdwa v82, v12, s18 dst_sel:DWORD dst_unused:UNUSED_PAD src0_sel:WORD_1 src1_sel:DWORD
	s_mov_b32 s20, 0xba62
	v_add_f16_e32 v11, v36, v11
	v_fma_f16 v36, v33, s1, -v82
	v_mul_f16_sdwa v83, v13, s27 dst_sel:DWORD dst_unused:UNUSED_PAD src0_sel:WORD_1 src1_sel:DWORD
	v_add_f16_e32 v11, v36, v11
	v_fma_f16 v36, v34, s13, -v83
	v_mul_f16_sdwa v84, v14, s20 dst_sel:DWORD dst_unused:UNUSED_PAD src0_sel:WORD_1 src1_sel:DWORD
	v_add_f16_e32 v11, v36, v11
	v_fma_f16 v36, v35, s17, -v84
	v_mul_f16_e32 v43, 0xba62, v32
	v_add_f16_e32 v11, v36, v11
	v_fma_f16 v36, v48, s17, v43
	v_mul_f16_e32 v44, 0x3bb2, v20
	v_add_f16_sdwa v36, v31, v36 dst_sel:DWORD dst_unused:UNUSED_PAD src0_sel:WORD_1 src1_sel:DWORD
	v_fma_f16 v37, v49, s10, v44
	v_mul_f16_e32 v85, 0xb5c8, v21
	v_add_f16_e32 v36, v37, v36
	v_fma_f16 v37, v51, s13, v85
	v_mul_f16_e32 v86, 0xb836, v16
	v_add_f16_e32 v36, v37, v36
	;; [unrolled: 3-line block ×6, first 2 shown]
	v_fma_f16 v37, v62, s14, v90
	v_mul_f16_sdwa v91, v32, s20 dst_sel:DWORD dst_unused:UNUSED_PAD src0_sel:WORD_1 src1_sel:DWORD
	v_add_f16_e32 v36, v37, v36
	v_fma_f16 v37, v23, s17, -v91
	v_mul_f16_sdwa v92, v20, s23 dst_sel:DWORD dst_unused:UNUSED_PAD src0_sel:WORD_1 src1_sel:DWORD
	v_fma_f16 v43, v48, s17, -v43
	v_add_f16_e32 v37, v31, v37
	v_fma_f16 v38, v22, s10, -v92
	v_mul_f16_sdwa v93, v21, s27 dst_sel:DWORD dst_unused:UNUSED_PAD src0_sel:WORD_1 src1_sel:DWORD
	v_add_f16_sdwa v43, v31, v43 dst_sel:DWORD dst_unused:UNUSED_PAD src0_sel:WORD_1 src1_sel:DWORD
	v_fma_f16 v44, v49, s10, -v44
	v_add_f16_e32 v37, v38, v37
	v_fma_f16 v38, v19, s13, -v93
	v_mul_f16_sdwa v94, v16, s7 dst_sel:DWORD dst_unused:UNUSED_PAD src0_sel:WORD_1 src1_sel:DWORD
	v_add_f16_e32 v43, v44, v43
	v_fma_f16 v44, v51, s13, -v85
	v_add_f16_e32 v37, v38, v37
	v_fma_f16 v38, v18, s16, -v94
	v_mul_f16_sdwa v95, v17, s18 dst_sel:DWORD dst_unused:UNUSED_PAD src0_sel:WORD_1 src1_sel:DWORD
	s_mov_b32 s28, 0xb964
	v_add_f16_e32 v43, v44, v43
	v_fma_f16 v44, v52, s16, -v86
	v_add_f16_e32 v37, v38, v37
	v_fma_f16 v38, v15, s1, -v95
	v_mul_f16_sdwa v96, v12, s28 dst_sel:DWORD dst_unused:UNUSED_PAD src0_sel:WORD_1 src1_sel:DWORD
	v_add_f16_e32 v43, v44, v43
	v_fma_f16 v44, v56, s1, -v87
	v_fma_f16 v47, v48, s1, -v47
	v_add_f16_e32 v37, v38, v37
	v_fma_f16 v38, v33, s19, -v96
	v_mul_f16_sdwa v97, v13, s0 dst_sel:DWORD dst_unused:UNUSED_PAD src0_sel:WORD_1 src1_sel:DWORD
	s_movk_i32 s21, 0x3b29
	v_add_f16_e32 v43, v44, v43
	v_fma_f16 v44, v58, s19, -v88
	v_add_f16_sdwa v47, v31, v47 dst_sel:DWORD dst_unused:UNUSED_PAD src0_sel:WORD_1 src1_sel:DWORD
	v_fma_f16 v50, v49, s11, -v50
	v_add_f16_e32 v37, v38, v37
	v_fma_f16 v38, v34, s11, -v97
	v_mul_f16_sdwa v98, v14, s21 dst_sel:DWORD dst_unused:UNUSED_PAD src0_sel:WORD_1 src1_sel:DWORD
	v_add_f16_e32 v43, v44, v43
	v_fma_f16 v44, v60, s11, -v89
	v_add_f16_e32 v47, v50, v47
	v_fma_f16 v50, v51, s10, -v53
	;; [unrolled: 2-line block ×3, first 2 shown]
	v_mul_f16_e32 v41, 0xb836, v32
	v_add_f16_e32 v43, v44, v43
	v_fma_f16 v44, v62, s14, -v90
	v_add_f16_e32 v47, v50, v47
	v_fma_f16 v50, v52, s13, -v54
	v_add_f16_e32 v37, v38, v37
	v_fma_f16 v38, v48, s16, v41
	v_mul_f16_e32 v42, 0x3b29, v20
	v_add_f16_e32 v43, v44, v43
	v_fma_f16 v44, v23, s17, v91
	v_add_f16_e32 v47, v50, v47
	v_fma_f16 v50, v56, s14, -v55
	v_add_f16_sdwa v38, v31, v38 dst_sel:DWORD dst_unused:UNUSED_PAD src0_sel:WORD_1 src1_sel:DWORD
	v_fma_f16 v39, v49, s14, v42
	v_mul_f16_e32 v99, 0xbbf7, v21
	v_add_f16_e32 v44, v31, v44
	v_fma_f16 v85, v22, s10, v92
	v_add_f16_e32 v47, v50, v47
	v_fma_f16 v50, v58, s16, -v57
	v_add_f16_e32 v38, v39, v38
	v_fma_f16 v39, v51, s1, v99
	v_mul_f16_e32 v100, 0x3a62, v16
	v_add_f16_e32 v44, v85, v44
	v_fma_f16 v85, v19, s13, v93
	v_add_f16_e32 v47, v50, v47
	v_fma_f16 v50, v60, s17, -v59
	v_add_f16_e32 v38, v39, v38
	;; [unrolled: 7-line block ×3, first 2 shown]
	v_fma_f16 v39, v56, s13, v101
	v_mul_f16_e32 v102, 0xb1e1, v12
	v_add_f16_e32 v44, v85, v44
	v_fma_f16 v85, v15, s1, v95
	v_add_f16_e32 v47, v50, v47
	v_fma_f16 v50, v23, s1, v63
	;; [unrolled: 2-line block ×3, first 2 shown]
	v_mul_f16_e32 v103, 0x3964, v13
	v_add_f16_e32 v44, v85, v44
	v_fma_f16 v85, v33, s19, v96
	v_add_f16_e32 v50, v31, v50
	v_fma_f16 v53, v22, s11, v64
	;; [unrolled: 2-line block ×3, first 2 shown]
	v_mul_f16_e32 v104, 0xbbb2, v14
	v_fma_f16 v41, v48, s16, -v41
	v_add_f16_e32 v44, v85, v44
	v_fma_f16 v85, v34, s11, v97
	v_add_f16_e32 v50, v53, v50
	v_fma_f16 v53, v19, s10, v65
	;; [unrolled: 2-line block ×3, first 2 shown]
	v_mul_f16_sdwa v105, v32, s7 dst_sel:DWORD dst_unused:UNUSED_PAD src0_sel:WORD_1 src1_sel:DWORD
	v_add_f16_sdwa v41, v31, v41 dst_sel:DWORD dst_unused:UNUSED_PAD src0_sel:WORD_1 src1_sel:DWORD
	v_fma_f16 v42, v49, s14, -v42
	v_add_f16_e32 v44, v85, v44
	v_fma_f16 v85, v35, s14, v98
	v_add_f16_e32 v50, v53, v50
	v_fma_f16 v53, v18, s13, v66
	v_add_f16_e32 v38, v39, v38
	v_fma_f16 v39, v23, s16, -v105
	v_mul_f16_sdwa v106, v20, s21 dst_sel:DWORD dst_unused:UNUSED_PAD src0_sel:WORD_1 src1_sel:DWORD
	v_add_f16_e32 v41, v42, v41
	v_fma_f16 v42, v51, s1, -v99
	v_add_f16_e32 v44, v85, v44
	v_add_f16_e32 v50, v53, v50
	v_fma_f16 v53, v15, s14, v67
	v_mul_f16_e32 v85, 0x39e9, v48
	v_add_f16_e32 v39, v31, v39
	v_fma_f16 v107, v22, s14, -v106
	v_add_f16_e32 v41, v42, v41
	v_fma_f16 v42, v52, s17, -v100
	v_fma_f16 v45, v48, s10, -v45
	v_add_f16_e32 v50, v53, v50
	v_fma_f16 v53, v33, s16, v68
	v_mul_f16_e32 v65, 0x3722, v48
	v_fma_f16 v48, v32, s12, v85
	v_mul_f16_e32 v86, 0x2de8, v49
	v_add_f16_e32 v39, v107, v39
	v_mul_f16_sdwa v107, v21, s22 dst_sel:DWORD dst_unused:UNUSED_PAD src0_sel:WORD_1 src1_sel:DWORD
	v_add_f16_e32 v41, v42, v41
	v_fma_f16 v42, v56, s13, -v101
	v_fma_f16 v46, v49, s16, -v46
	v_add_f16_e32 v50, v53, v50
	v_fma_f16 v53, v34, s17, v69
	v_mul_f16_e32 v66, 0xb8d2, v49
	v_add_f16_sdwa v48, v31, v48 dst_sel:DWORD dst_unused:UNUSED_PAD src0_sel:WORD_1 src1_sel:DWORD
	v_fma_f16 v49, v20, s18, v86
	v_mul_f16_e32 v87, 0xb8d2, v51
	v_fma_f16 v108, v19, s1, -v107
	v_add_f16_e32 v41, v42, v41
	v_fma_f16 v42, v58, s11, -v102
	v_add_f16_e32 v50, v53, v50
	v_fma_f16 v53, v35, s19, v70
	s_movk_i32 s29, 0x31e1
	v_add_f16_e32 v48, v49, v48
	v_fma_f16 v49, v21, s26, v87
	v_mul_f16_e32 v88, 0xbbdd, v52
	v_add_f16_e32 v39, v108, v39
	v_mul_f16_sdwa v108, v16, s26 dst_sel:DWORD dst_unused:UNUSED_PAD src0_sel:WORD_1 src1_sel:DWORD
	v_add_f16_e32 v41, v42, v41
	v_fma_f16 v42, v60, s19, -v103
	v_add_f16_sdwa v45, v31, v45 dst_sel:DWORD dst_unused:UNUSED_PAD src0_sel:WORD_1 src1_sel:DWORD
	v_add_f16_e32 v50, v53, v50
	v_fma_f16 v53, v32, s21, v65
	v_add_f16_e32 v48, v49, v48
	v_fma_f16 v49, v16, s29, v88
	v_mul_f16_e32 v89, 0xbacd, v56
	v_fma_f16 v109, v18, s17, -v108
	v_add_f16_e32 v41, v42, v41
	v_fma_f16 v42, v62, s10, -v104
	v_add_f16_e32 v45, v46, v45
	v_fma_f16 v46, v51, s19, -v71
	v_add_f16_sdwa v53, v31, v53 dst_sel:DWORD dst_unused:UNUSED_PAD src0_sel:WORD_1 src1_sel:DWORD
	v_fma_f16 v54, v20, s26, v66
	v_mul_f16_e32 v67, 0xbbdd, v51
	v_add_f16_e32 v48, v49, v48
	v_fma_f16 v49, v17, s7, v89
	v_mul_f16_e32 v90, 0xb461, v58
	v_add_f16_e32 v39, v109, v39
	v_mul_f16_sdwa v109, v17, s27 dst_sel:DWORD dst_unused:UNUSED_PAD src0_sel:WORD_1 src1_sel:DWORD
	v_add_f16_e32 v41, v42, v41
	v_fma_f16 v42, v23, s16, v105
	v_add_f16_e32 v45, v46, v45
	v_fma_f16 v46, v52, s14, -v72
	v_add_f16_e32 v53, v54, v53
	v_fma_f16 v54, v21, s0, v67
	v_mul_f16_e32 v68, 0xb461, v52
	v_add_f16_e32 v48, v49, v48
	v_fma_f16 v49, v12, s15, v90
	v_mul_f16_e32 v91, 0x3722, v60
	v_fma_f16 v110, v15, s13, -v109
	v_add_f16_e32 v42, v31, v42
	v_fma_f16 v99, v22, s14, v106
	v_add_f16_e32 v45, v46, v45
	v_fma_f16 v46, v56, s11, -v73
	v_add_f16_e32 v53, v54, v53
	v_fma_f16 v54, v16, s15, v68
	v_mul_f16_e32 v69, 0x39e9, v56
	v_add_f16_e32 v48, v49, v48
	v_fma_f16 v49, v13, s24, v91
	v_mul_f16_e32 v92, 0x3b76, v62
	v_add_f16_e32 v39, v110, v39
	v_mul_f16_sdwa v110, v12, s0 dst_sel:DWORD dst_unused:UNUSED_PAD src0_sel:WORD_1 src1_sel:DWORD
	v_add_f16_e32 v42, v99, v42
	v_fma_f16 v99, v19, s1, v107
	v_add_f16_e32 v45, v46, v45
	v_fma_f16 v46, v58, s1, -v74
	v_add_f16_e32 v53, v54, v53
	v_fma_f16 v54, v17, s28, v69
	v_mul_f16_e32 v74, 0x3b76, v58
	v_add_f16_e32 v48, v49, v48
	v_fma_f16 v49, v14, s27, v92
	v_mul_f16_sdwa v93, v32, s28 dst_sel:DWORD dst_unused:UNUSED_PAD src0_sel:WORD_1 src1_sel:DWORD
	v_fma_f16 v111, v33, s11, -v110
	v_add_f16_e32 v42, v99, v42
	v_fma_f16 v99, v18, s17, v108
	v_add_f16_e32 v45, v46, v45
	v_fma_f16 v46, v60, s13, -v75
	v_add_f16_e32 v53, v54, v53
	v_fma_f16 v54, v12, s6, v74
	v_mul_f16_e32 v75, 0x2de8, v60
	v_add_f16_e32 v72, v49, v48
	v_fma_f16 v48, v23, s19, v93
	v_mul_f16_sdwa v94, v20, s22 dst_sel:DWORD dst_unused:UNUSED_PAD src0_sel:WORD_1 src1_sel:DWORD
	v_add_f16_e32 v39, v111, v39
	v_mul_f16_sdwa v111, v13, s12 dst_sel:DWORD dst_unused:UNUSED_PAD src0_sel:WORD_1 src1_sel:DWORD
	v_add_f16_e32 v42, v99, v42
	v_fma_f16 v99, v15, s13, v109
	v_add_f16_e32 v45, v46, v45
	v_fma_f16 v46, v62, s17, -v76
	v_add_f16_e32 v53, v54, v53
	v_fma_f16 v54, v13, s18, v75
	v_mul_f16_e32 v76, 0xbacd, v62
	v_add_f16_e32 v48, v31, v48
	v_fma_f16 v49, v22, s1, v94
	v_mul_f16_sdwa v95, v21, s20 dst_sel:DWORD dst_unused:UNUSED_PAD src0_sel:WORD_1 src1_sel:DWORD
	v_fma_f16 v112, v34, s19, -v111
	v_add_f16_e32 v42, v99, v42
	v_fma_f16 v99, v33, s11, v110
	v_add_f16_e32 v45, v46, v45
	v_fma_f16 v46, v23, s10, v77
	;; [unrolled: 2-line block ×3, first 2 shown]
	v_mul_f16_sdwa v77, v32, s24 dst_sel:DWORD dst_unused:UNUSED_PAD src0_sel:WORD_1 src1_sel:DWORD
	v_add_f16_e32 v48, v49, v48
	v_fma_f16 v49, v19, s17, v95
	v_mul_f16_sdwa v96, v16, s0 dst_sel:DWORD dst_unused:UNUSED_PAD src0_sel:WORD_1 src1_sel:DWORD
	v_add_f16_e32 v39, v112, v39
	v_mul_f16_sdwa v112, v14, s15 dst_sel:DWORD dst_unused:UNUSED_PAD src0_sel:WORD_1 src1_sel:DWORD
	v_add_f16_e32 v42, v99, v42
	v_fma_f16 v99, v34, s19, v111
	v_add_f16_e32 v46, v31, v46
	v_fma_f16 v71, v22, s16, v78
	;; [unrolled: 2-line block ×3, first 2 shown]
	v_mul_f16_sdwa v78, v20, s20 dst_sel:DWORD dst_unused:UNUSED_PAD src0_sel:WORD_1 src1_sel:DWORD
	v_add_f16_e32 v48, v49, v48
	v_fma_f16 v49, v18, s11, v96
	v_mul_f16_sdwa v97, v17, s25 dst_sel:DWORD dst_unused:UNUSED_PAD src0_sel:WORD_1 src1_sel:DWORD
	v_add_f16_e32 v42, v99, v42
	v_fma_f16 v99, v35, s10, v112
	v_add_f16_e32 v46, v71, v46
	v_fma_f16 v71, v19, s19, v79
	;; [unrolled: 2-line block ×3, first 2 shown]
	v_mul_f16_sdwa v79, v21, s29 dst_sel:DWORD dst_unused:UNUSED_PAD src0_sel:WORD_1 src1_sel:DWORD
	v_add_f16_e32 v48, v49, v48
	v_fma_f16 v49, v15, s16, v97
	v_mul_f16_sdwa v98, v12, s23 dst_sel:DWORD dst_unused:UNUSED_PAD src0_sel:WORD_1 src1_sel:DWORD
	v_add_f16_e32 v42, v99, v42
	v_add_f16_e32 v46, v71, v46
	v_fma_f16 v71, v18, s14, v80
	v_add_f16_e32 v53, v54, v53
	v_fma_f16 v54, v19, s11, v79
	v_mul_f16_sdwa v80, v16, s23 dst_sel:DWORD dst_unused:UNUSED_PAD src0_sel:WORD_1 src1_sel:DWORD
	v_add_f16_e32 v48, v49, v48
	v_fma_f16 v49, v33, s10, v98
	v_mul_f16_sdwa v99, v13, s21 dst_sel:DWORD dst_unused:UNUSED_PAD src0_sel:WORD_1 src1_sel:DWORD
	v_add_f16_e32 v46, v71, v46
	v_fma_f16 v71, v15, s11, v81
	v_add_f16_e32 v53, v54, v53
	v_fma_f16 v54, v18, s10, v80
	v_mul_f16_sdwa v81, v17, s12 dst_sel:DWORD dst_unused:UNUSED_PAD src0_sel:WORD_1 src1_sel:DWORD
	v_add_f16_e32 v48, v49, v48
	v_fma_f16 v49, v34, s14, v99
	v_mul_f16_sdwa v100, v14, s6 dst_sel:DWORD dst_unused:UNUSED_PAD src0_sel:WORD_1 src1_sel:DWORD
	v_add_f16_e32 v46, v71, v46
	v_fma_f16 v71, v33, s1, v82
	v_add_f16_e32 v53, v54, v53
	v_fma_f16 v54, v15, s19, v81
	v_mul_f16_sdwa v82, v12, s27 dst_sel:DWORD dst_unused:UNUSED_PAD src0_sel:WORD_1 src1_sel:DWORD
	v_add_f16_e32 v48, v49, v48
	v_fma_f16 v49, v35, s13, v100
	v_add_f16_e32 v46, v71, v46
	v_fma_f16 v71, v34, s13, v83
	;; [unrolled: 2-line block ×3, first 2 shown]
	v_mul_f16_sdwa v83, v13, s22 dst_sel:DWORD dst_unused:UNUSED_PAD src0_sel:WORD_1 src1_sel:DWORD
	v_add_f16_e32 v73, v49, v48
	v_pk_mul_f16 v49, v32, s27 op_sel_hi:[1,0]
	v_add_f16_e32 v46, v71, v46
	v_fma_f16 v71, v35, s17, v84
	v_add_f16_e32 v53, v54, v53
	v_fma_f16 v54, v34, s1, v83
	v_mul_f16_sdwa v84, v14, s7 dst_sel:DWORD dst_unused:UNUSED_PAD src0_sel:WORD_1 src1_sel:DWORD
	v_pk_fma_f16 v48, v23, s13, v49 op_sel:[0,0,1] op_sel_hi:[1,0,0]
	v_pk_fma_f16 v49, v23, s13, v49 op_sel:[0,0,1] op_sel_hi:[1,0,0] neg_lo:[0,0,1] neg_hi:[0,0,1]
	s_mov_b32 s26, 0xffff
	v_fma_f16 v65, v32, s24, v65
	v_add_f16_e32 v53, v54, v53
	v_fma_f16 v54, v35, s16, v84
	v_bfi_b32 v51, s26, v48, v49
	v_pk_mul_f16 v52, v20, s28 op_sel_hi:[1,0]
	v_add_f16_sdwa v65, v31, v65 dst_sel:DWORD dst_unused:UNUSED_PAD src0_sel:WORD_1 src1_sel:DWORD
	v_fma_f16 v66, v20, s20, v66
	v_add_f16_e32 v46, v71, v46
	v_add_f16_e32 v71, v54, v53
	v_pk_add_f16 v53, v31, v51
	v_pk_fma_f16 v51, v22, s19, v52 op_sel:[0,0,1] op_sel_hi:[1,0,0]
	v_pk_fma_f16 v52, v22, s19, v52 op_sel:[0,0,1] op_sel_hi:[1,0,0] neg_lo:[0,0,1] neg_hi:[0,0,1]
	v_add_f16_e32 v65, v66, v65
	v_fma_f16 v66, v21, s29, v67
	v_bfi_b32 v54, s26, v51, v52
	v_add_f16_e32 v65, v66, v65
	v_fma_f16 v66, v16, s23, v68
	v_pk_add_f16 v55, v54, v53
	v_pk_mul_f16 v54, v21, s24 op_sel_hi:[1,0]
	v_add_f16_e32 v65, v66, v65
	v_fma_f16 v66, v17, s12, v69
	v_pk_fma_f16 v53, v19, s14, v54 op_sel:[0,0,1] op_sel_hi:[1,0,0]
	v_pk_fma_f16 v54, v19, s14, v54 op_sel:[0,0,1] op_sel_hi:[1,0,0] neg_lo:[0,0,1] neg_hi:[0,0,1]
	v_add_f16_e32 v65, v66, v65
	v_fma_f16 v66, v12, s27, v74
	v_bfi_b32 v56, s26, v53, v54
	v_add_f16_e32 v65, v66, v65
	v_fma_f16 v66, v13, s22, v75
	v_pk_add_f16 v57, v56, v55
	v_pk_mul_f16 v56, v16, s22 op_sel_hi:[1,0]
	v_add_f16_e32 v65, v66, v65
	v_fma_f16 v66, v14, s7, v76
	v_pk_fma_f16 v55, v18, s1, v56 op_sel:[0,0,1] op_sel_hi:[1,0,0]
	v_pk_fma_f16 v56, v18, s1, v56 op_sel:[0,0,1] op_sel_hi:[1,0,0] neg_lo:[0,0,1] neg_hi:[0,0,1]
	v_add_f16_e32 v65, v66, v65
	v_fma_f16 v66, v23, s14, -v77
	v_bfi_b32 v58, s26, v55, v56
	v_add_f16_e32 v66, v31, v66
	v_fma_f16 v67, v22, s17, -v78
	v_pk_add_f16 v59, v58, v57
	v_pk_mul_f16 v58, v17, s15 op_sel_hi:[1,0]
	v_add_f16_e32 v66, v67, v66
	v_fma_f16 v67, v19, s11, -v79
	v_pk_fma_f16 v57, v15, s10, v58 op_sel:[0,0,1] op_sel_hi:[1,0,0]
	v_pk_fma_f16 v58, v15, s10, v58 op_sel:[0,0,1] op_sel_hi:[1,0,0] neg_lo:[0,0,1] neg_hi:[0,0,1]
	v_add_f16_e32 v66, v67, v66
	v_fma_f16 v67, v18, s10, -v80
	v_bfi_b32 v60, s26, v57, v58
	v_add_f16_e32 v66, v67, v66
	v_fma_f16 v67, v15, s19, -v81
	v_pk_add_f16 v61, v60, v59
	v_pk_mul_f16 v60, v12, s20 op_sel_hi:[1,0]
	v_add_f16_e32 v66, v67, v66
	v_fma_f16 v67, v33, s13, -v82
	v_pk_fma_f16 v59, v33, s17, v60 op_sel:[0,0,1] op_sel_hi:[1,0,0]
	v_pk_fma_f16 v60, v33, s17, v60 op_sel:[0,0,1] op_sel_hi:[1,0,0] neg_lo:[0,0,1] neg_hi:[0,0,1]
	v_add_f16_e32 v66, v67, v66
	v_fma_f16 v67, v34, s1, -v83
	v_bfi_b32 v62, s26, v59, v60
	v_add_f16_e32 v66, v67, v66
	v_fma_f16 v67, v35, s16, -v84
	v_pk_add_f16 v63, v62, v61
	v_pk_mul_f16 v62, v13, s7 op_sel_hi:[1,0]
	v_add_f16_e32 v67, v67, v66
	v_fma_f16 v66, v32, s28, v85
	v_pk_fma_f16 v61, v34, s16, v62 op_sel:[0,0,1] op_sel_hi:[1,0,0]
	v_pk_fma_f16 v62, v34, s16, v62 op_sel:[0,0,1] op_sel_hi:[1,0,0] neg_lo:[0,0,1] neg_hi:[0,0,1]
	v_add_f16_sdwa v66, v31, v66 dst_sel:DWORD dst_unused:UNUSED_PAD src0_sel:WORD_1 src1_sel:DWORD
	v_fma_f16 v68, v20, s22, v86
	v_bfi_b32 v64, s26, v61, v62
	v_add_f16_e32 v66, v68, v66
	v_fma_f16 v68, v21, s20, v87
	v_pk_add_f16 v101, v64, v63
	v_pk_mul_f16 v64, v14, s0 op_sel_hi:[1,0]
	v_add_f16_e32 v66, v68, v66
	v_fma_f16 v68, v16, s0, v88
	v_pk_fma_f16 v63, v35, s11, v64 op_sel:[0,0,1] op_sel_hi:[1,0,0]
	v_pk_fma_f16 v64, v35, s11, v64 op_sel:[0,0,1] op_sel_hi:[1,0,0] neg_lo:[0,0,1] neg_hi:[0,0,1]
	v_add_f16_e32 v66, v68, v66
	v_fma_f16 v68, v17, s25, v89
	v_bfi_b32 v102, s26, v63, v64
	v_add_f16_e32 v68, v68, v66
	v_mul_u32_u24_e32 v66, 0x44, v0
	v_pk_add_f16 v101, v102, v101
	v_add3_u32 v66, 0, v66, v24
	v_fma_f16 v69, v12, s23, v90
	v_add_f16_e32 v68, v69, v68
	v_fma_f16 v69, v13, s21, v91
	ds_write2_b32 v66, v40, v101 offset1:1
	v_pack_b32_f16 v40, v71, v70
	v_pack_b32_f16 v70, v73, v72
	v_add_f16_e32 v68, v69, v68
	v_fma_f16 v69, v14, s6, v92
	ds_write2_b32 v66, v70, v40 offset0:2 offset1:3
	v_pack_b32_f16 v40, v46, v45
	v_pack_b32_f16 v45, v50, v47
	v_add_f16_e32 v68, v69, v68
	v_fma_f16 v69, v23, s19, -v93
	ds_write2_b32 v66, v45, v40 offset0:4 offset1:5
	v_pack_b32_f16 v40, v42, v41
	v_pack_b32_f16 v41, v44, v43
	v_pk_mul_f16 v23, v23, s11 op_sel_hi:[1,0]
	v_add_f16_e32 v69, v31, v69
	v_fma_f16 v74, v22, s1, -v94
	ds_write2_b32 v66, v41, v40 offset0:6 offset1:7
	v_pk_fma_f16 v40, v32, s0, v23 op_sel:[0,0,1] op_sel_hi:[1,0,0]
	v_pk_mul_f16 v22, v22, s13 op_sel_hi:[1,0]
	v_pk_fma_f16 v23, v32, s0, v23 op_sel:[0,0,1] op_sel_hi:[1,0,0] neg_lo:[1,0,0] neg_hi:[1,0,0]
	v_add_f16_e32 v69, v74, v69
	v_fma_f16 v74, v19, s17, -v95
	v_pk_fma_f16 v42, v20, s6, v22 op_sel:[0,0,1] op_sel_hi:[1,0,0]
	v_pk_mul_f16 v19, v19, s16 op_sel_hi:[1,0]
	v_pk_add_f16 v23, v31, v23 op_sel:[1,0] op_sel_hi:[0,1]
	v_pk_fma_f16 v20, v20, s6, v22 op_sel:[0,0,1] op_sel_hi:[1,0,0] neg_lo:[1,0,0] neg_hi:[1,0,0]
	v_add_f16_e32 v69, v74, v69
	v_fma_f16 v74, v18, s11, -v96
	v_pk_fma_f16 v43, v21, s7, v19 op_sel:[0,0,1] op_sel_hi:[1,0,0]
	v_pk_mul_f16 v18, v18, s19 op_sel_hi:[1,0]
	v_pk_add_f16 v20, v20, v23
	v_pk_fma_f16 v19, v21, s7, v19 op_sel:[0,0,1] op_sel_hi:[1,0,0] neg_lo:[1,0,0] neg_hi:[1,0,0]
	v_add_f16_e32 v69, v74, v69
	v_fma_f16 v74, v15, s16, -v97
	v_pk_fma_f16 v44, v16, s12, v18 op_sel:[0,0,1] op_sel_hi:[1,0,0]
	v_pk_mul_f16 v15, v15, s17 op_sel_hi:[1,0]
	v_pk_add_f16 v19, v19, v20
	;; [unrolled: 6-line block ×4, first 2 shown]
	v_pk_fma_f16 v12, v12, s21, v33 op_sel:[0,0,1] op_sel_hi:[1,0,0] neg_lo:[1,0,0] neg_hi:[1,0,0]
	v_fma_f16 v113, v35, s10, -v112
	v_add_f16_e32 v69, v74, v69
	v_fma_f16 v74, v35, s13, -v100
	v_pk_fma_f16 v47, v13, s15, v34 op_sel:[0,0,1] op_sel_hi:[1,0,0]
	v_pk_mul_f16 v35, v35, s1 op_sel_hi:[1,0]
	v_pk_add_f16 v12, v12, v15
	v_pk_fma_f16 v13, v13, s15, v34 op_sel:[0,0,1] op_sel_hi:[1,0,0] neg_lo:[1,0,0] neg_hi:[1,0,0]
	v_pk_add_f16 v12, v13, v12
	v_pk_fma_f16 v13, v14, s18, v35 op_sel:[0,0,1] op_sel_hi:[1,0,0] neg_lo:[1,0,0] neg_hi:[1,0,0]
	v_add_f16_e32 v69, v74, v69
	v_alignbit_b32 v41, s0, v31, 16
	v_pk_add_f16 v12, v13, v12
	v_alignbit_b32 v13, s0, v40, 16
	v_pack_b32_f16 v8, v9, v8
	v_pack_b32_f16 v9, v11, v10
	v_pk_add_f16 v41, v41, v40
	v_pk_fma_f16 v50, v14, s18, v35 op_sel:[0,0,1] op_sel_hi:[1,0,0]
	v_pk_add_f16 v13, v31, v13
	v_alignbit_b32 v14, s0, v42, 16
	ds_write2_b32 v66, v9, v8 offset0:12 offset1:13
	v_pack_b32_f16 v8, v69, v68
	v_pack_b32_f16 v9, v67, v65
	v_pk_add_f16 v41, v42, v41
	v_pk_add_f16 v13, v14, v13
	v_alignbit_b32 v14, s0, v43, 16
	ds_write2_b32 v66, v9, v8 offset0:14 offset1:15
	v_bfi_b32 v8, s26, v49, v48
	v_pk_add_f16 v41, v43, v41
	v_pk_add_f16 v13, v14, v13
	v_alignbit_b32 v14, s0, v44, 16
	v_pk_add_f16 v8, v31, v8
	v_bfi_b32 v9, s26, v52, v51
	v_pk_add_f16 v41, v44, v41
	v_pk_add_f16 v13, v14, v13
	v_alignbit_b32 v14, s0, v45, 16
	v_pk_add_f16 v8, v9, v8
	;; [unrolled: 5-line block ×5, first 2 shown]
	v_bfi_b32 v9, s26, v60, v59
	v_pk_add_f16 v41, v50, v41
	v_pk_add_f16 v13, v14, v13
	;; [unrolled: 1-line block ×3, first 2 shown]
	v_bfi_b32 v9, s26, v62, v61
	v_add_f16_e32 v39, v113, v39
	v_alignbit_b32 v14, v41, v12, 16
	v_pack_b32_f16 v12, v13, v12
	v_pk_add_f16 v8, v9, v8
	v_bfi_b32 v9, s26, v64, v63
	ds_write2_b32 v66, v12, v14 offset0:8 offset1:9
	v_pack_b32_f16 v12, v37, v36
	v_pack_b32_f16 v13, v39, v38
	v_pk_add_f16 v8, v9, v8
	ds_write2_b32 v66, v13, v12 offset0:10 offset1:11
	ds_write_b32 v66, v8 offset:64
.LBB0_18:
	s_or_b64 exec, exec, s[4:5]
	s_movk_i32 s4, 0xf1
	v_add_u16_e32 v8, 0x88, v0
	v_mul_lo_u16_sdwa v9, v8, s4 dst_sel:DWORD dst_unused:UNUSED_PAD src0_sel:BYTE_0 src1_sel:DWORD
	v_lshrrev_b16_e32 v21, 12, v9
	v_mul_lo_u16_e32 v9, 17, v21
	v_sub_u16_e32 v8, v8, v9
	v_mov_b32_e32 v11, 2
	v_lshlrev_b32_sdwa v22, v11, v8 dst_sel:DWORD dst_unused:UNUSED_PAD src0_sel:DWORD src1_sel:BYTE_0
	v_add_u16_e32 v8, 0xaa, v0
	v_mul_lo_u16_sdwa v9, v8, s4 dst_sel:DWORD dst_unused:UNUSED_PAD src0_sel:BYTE_0 src1_sel:DWORD
	v_add_u16_e32 v13, 0x66, v0
	v_lshrrev_b16_e32 v23, 12, v9
	v_add_u16_e32 v9, 0xcc, v0
	v_mul_lo_u16_sdwa v14, v13, s4 dst_sel:DWORD dst_unused:UNUSED_PAD src0_sel:BYTE_0 src1_sel:DWORD
	v_mul_lo_u16_sdwa v10, v9, s4 dst_sel:DWORD dst_unused:UNUSED_PAD src0_sel:BYTE_0 src1_sel:DWORD
	v_lshrrev_b16_e32 v37, 12, v14
	v_lshrrev_b16_e32 v31, 12, v10
	v_mul_lo_u16_e32 v14, 17, v37
	v_mul_lo_u16_e32 v10, 17, v31
	v_add_u16_e32 v12, 0x44, v0
	v_sub_u16_e32 v13, v13, v14
	v_sub_u16_e32 v9, v9, v10
	v_lshlrev_b32_sdwa v38, v11, v13 dst_sel:DWORD dst_unused:UNUSED_PAD src0_sel:DWORD src1_sel:BYTE_0
	v_mul_lo_u16_sdwa v13, v12, s4 dst_sel:DWORD dst_unused:UNUSED_PAD src0_sel:BYTE_0 src1_sel:DWORD
	v_lshlrev_b32_sdwa v32, v11, v9 dst_sel:DWORD dst_unused:UNUSED_PAD src0_sel:DWORD src1_sel:BYTE_0
	v_mul_lo_u16_e32 v9, 17, v23
	v_lshrrev_b16_e32 v40, 12, v13
	v_sub_u16_e32 v8, v8, v9
	v_mul_lo_u16_e32 v13, 17, v40
	s_waitcnt lgkmcnt(0)
	s_barrier
	global_load_dword v33, v32, s[8:9]
	v_lshlrev_b32_sdwa v34, v11, v8 dst_sel:DWORD dst_unused:UNUSED_PAD src0_sel:DWORD src1_sel:BYTE_0
	v_subrev_u32_e32 v8, 17, v0
	v_cmp_gt_u32_e64 s[0:1], 17, v0
	v_mov_b32_e32 v9, v1
	v_add_u16_e32 v1, 34, v0
	v_sub_u16_e32 v12, v12, v13
	v_cndmask_b32_e64 v8, v8, v0, s[0:1]
	v_lshlrev_b32_sdwa v41, v11, v12 dst_sel:DWORD dst_unused:UNUSED_PAD src0_sel:DWORD src1_sel:BYTE_0
	v_mul_lo_u16_sdwa v12, v1, s4 dst_sel:DWORD dst_unused:UNUSED_PAD src0_sel:BYTE_0 src1_sel:DWORD
	global_load_dword v35, v22, s[8:9]
	global_load_dword v36, v34, s[8:9]
	v_lshlrev_b64 v[9:10], 2, v[8:9]
	v_lshrrev_b16_e32 v43, 12, v12
	v_mul_lo_u16_e32 v12, 17, v43
	global_load_dword v39, v38, s[8:9]
	global_load_dword v42, v41, s[8:9]
	v_sub_u16_e32 v1, v1, v12
	v_mov_b32_e32 v45, s9
	v_add_co_u32_e64 v9, s[0:1], s8, v9
	v_lshlrev_b32_sdwa v1, v11, v1 dst_sel:DWORD dst_unused:UNUSED_PAD src0_sel:DWORD src1_sel:BYTE_0
	v_addc_co_u32_e64 v10, s[0:1], v45, v10, s[0:1]
	global_load_dword v46, v[9:10], off
	global_load_dword v44, v1, s[8:9]
	ds_read2_b32 v[9:10], v30 offset0:110 offset1:144
	ds_read2_b32 v[11:12], v27 offset0:34 offset1:68
	;; [unrolled: 1-line block ×5, first 2 shown]
	ds_read_b32 v48, v26
	ds_read_b32 v49, v27 offset:1768
	ds_read2_b32 v[19:20], v29 offset0:118 offset1:152
	s_movk_i32 s4, 0x88
	v_mad_u32_u24 v21, v21, s4, 0
	v_mad_u32_u24 v23, v23, s4, 0
	;; [unrolled: 1-line block ×3, first 2 shown]
	v_add3_u32 v21, v21, v22, v24
	v_add3_u32 v22, v23, v34, v24
	;; [unrolled: 1-line block ×3, first 2 shown]
	v_mad_u32_u24 v43, v43, s4, 0
	v_mad_u32_u24 v40, v40, s4, 0
	;; [unrolled: 1-line block ×3, first 2 shown]
	s_mov_b32 s4, 0xffff
	v_mov_b32_e32 v47, 0x88
	v_cmp_lt_u32_e64 s[0:1], 16, v0
	v_cndmask_b32_e64 v47, 0, v47, s[0:1]
	v_add_u32_e32 v47, 0, v47
	v_lshlrev_b32_e32 v8, 2, v8
	v_add3_u32 v8, v47, v8, v24
	v_add3_u32 v1, v43, v1, v24
	;; [unrolled: 1-line block ×4, first 2 shown]
	s_waitcnt vmcnt(0) lgkmcnt(0)
	s_barrier
	s_movk_i32 s0, 0x2b26
	s_mov_b32 s1, 0xbb00
	s_mov_b32 s5, 0xbcab
	s_movk_i32 s6, 0x39e0
	s_mov_b32 s7, 0xb9e0
	s_movk_i32 s10, 0x3574
	s_mov_b32 s11, 0xb70e
	v_pk_mul_f16 v31, v49, v33 op_sel:[0,1]
	v_pk_fma_f16 v32, v49, v33, v31 op_sel:[0,0,1] op_sel_hi:[1,1,0]
	v_pk_fma_f16 v31, v49, v33, v31 op_sel:[0,0,1] op_sel_hi:[1,0,0] neg_lo:[0,0,1] neg_hi:[0,0,1]
	v_bfi_b32 v31, s4, v32, v31
	v_pk_add_f16 v31, v18, v31 neg_lo:[0,1] neg_hi:[0,1]
	v_pk_fma_f16 v18, v18, 2.0, v31 op_sel_hi:[1,0,1] neg_lo:[0,0,1] neg_hi:[0,0,1]
	v_pk_mul_f16 v32, v20, v36 op_sel:[0,1]
	v_pk_fma_f16 v33, v20, v36, v32 op_sel:[0,0,1] op_sel_hi:[1,1,0]
	v_pk_fma_f16 v20, v20, v36, v32 op_sel:[0,0,1] op_sel_hi:[1,0,0] neg_lo:[0,0,1] neg_hi:[0,0,1]
	v_pk_mul_f16 v32, v19, v35 op_sel:[0,1]
	v_bfi_b32 v20, s4, v33, v20
	v_pk_fma_f16 v33, v19, v35, v32 op_sel:[0,0,1] op_sel_hi:[1,1,0]
	v_pk_fma_f16 v19, v19, v35, v32 op_sel:[0,0,1] op_sel_hi:[1,0,0] neg_lo:[0,0,1] neg_hi:[0,0,1]
	v_pk_mul_f16 v32, v39, v14 op_sel:[0,1]
	v_bfi_b32 v19, s4, v33, v19
	;; [unrolled: 4-line block ×5, first 2 shown]
	v_pk_fma_f16 v33, v46, v9, v32 op_sel:[0,0,1] op_sel_hi:[1,1,0]
	v_pk_fma_f16 v9, v46, v9, v32 op_sel:[0,0,1] op_sel_hi:[1,0,0] neg_lo:[1,0,0] neg_hi:[1,0,0]
	v_bfi_b32 v9, s4, v33, v9
	v_pk_add_f16 v9, v48, v9 neg_lo:[0,1] neg_hi:[0,1]
	v_pk_add_f16 v20, v17, v20 neg_lo:[0,1] neg_hi:[0,1]
	v_pk_add_f16 v19, v16, v19 neg_lo:[0,1] neg_hi:[0,1]
	v_pk_add_f16 v14, v15, v14 neg_lo:[0,1] neg_hi:[0,1]
	v_pk_add_f16 v13, v12, v13 neg_lo:[0,1] neg_hi:[0,1]
	v_pk_add_f16 v10, v11, v10 neg_lo:[0,1] neg_hi:[0,1]
	v_pk_fma_f16 v32, v48, 2.0, v9 op_sel_hi:[1,0,1] neg_lo:[0,0,1] neg_hi:[0,0,1]
	v_pk_fma_f16 v17, v17, 2.0, v20 op_sel_hi:[1,0,1] neg_lo:[0,0,1] neg_hi:[0,0,1]
	;; [unrolled: 1-line block ×6, first 2 shown]
	ds_write2_b32 v8, v32, v9 offset1:17
	ds_write2_b32 v1, v11, v10 offset1:17
	;; [unrolled: 1-line block ×7, first 2 shown]
	v_mul_u32_u24_e32 v1, 6, v0
	v_lshlrev_b32_e32 v1, 2, v1
	s_waitcnt lgkmcnt(0)
	s_barrier
	global_load_dwordx4 v[8:11], v1, s[8:9] offset:68
	global_load_dwordx2 v[12:13], v1, s[8:9] offset:84
	ds_read2_b32 v[14:15], v27 offset0:34 offset1:68
	ds_read2_b32 v[16:17], v27 offset0:102 offset1:136
	;; [unrolled: 1-line block ×6, first 2 shown]
	ds_read_b32 v1, v26
	ds_read_b32 v33, v27 offset:1768
	s_waitcnt lgkmcnt(7)
	v_lshrrev_b32_e32 v41, 16, v15
	s_waitcnt lgkmcnt(5)
	v_lshrrev_b32_e32 v43, 16, v19
	v_lshrrev_b32_e32 v42, 16, v17
	s_waitcnt lgkmcnt(4)
	v_lshrrev_b32_e32 v34, 16, v21
	v_lshrrev_b32_e32 v35, 16, v16
	;; [unrolled: 1-line block ×3, first 2 shown]
	s_waitcnt lgkmcnt(3)
	v_lshrrev_b32_e32 v37, 16, v22
	s_waitcnt lgkmcnt(2)
	v_lshrrev_b32_e32 v38, 16, v31
	v_lshrrev_b32_e32 v39, 16, v20
	s_waitcnt lgkmcnt(0)
	v_lshrrev_b32_e32 v40, 16, v33
	s_mov_b32 s9, 0xb574
	s_waitcnt vmcnt(0)
	s_barrier
	v_mul_f16_sdwa v44, v8, v41 dst_sel:DWORD dst_unused:UNUSED_PAD src0_sel:WORD_1 src1_sel:DWORD
	v_mul_f16_sdwa v49, v10, v43 dst_sel:DWORD dst_unused:UNUSED_PAD src0_sel:WORD_1 src1_sel:DWORD
	;; [unrolled: 1-line block ×3, first 2 shown]
	v_fma_f16 v15, v8, v15, v44
	v_fma_f16 v44, v10, v19, v49
	v_mul_f16_sdwa v19, v10, v19 dst_sel:DWORD dst_unused:UNUSED_PAD src0_sel:WORD_1 src1_sel:DWORD
	v_fma_f16 v19, v10, v43, -v19
	v_lshrrev_b32_e32 v43, 16, v23
	v_fma_f16 v41, v8, v41, -v46
	v_mul_f16_sdwa v46, v11, v43 dst_sel:DWORD dst_unused:UNUSED_PAD src0_sel:WORD_1 src1_sel:DWORD
	v_fma_f16 v46, v11, v23, v46
	v_mul_f16_sdwa v23, v11, v23 dst_sel:DWORD dst_unused:UNUSED_PAD src0_sel:WORD_1 src1_sel:DWORD
	v_mul_f16_sdwa v47, v9, v42 dst_sel:DWORD dst_unused:UNUSED_PAD src0_sel:WORD_1 src1_sel:DWORD
	v_fma_f16 v23, v11, v43, -v23
	v_lshrrev_b32_e32 v43, 16, v32
	v_mul_f16_sdwa v48, v9, v17 dst_sel:DWORD dst_unused:UNUSED_PAD src0_sel:WORD_1 src1_sel:DWORD
	v_fma_f16 v17, v9, v17, v47
	v_mul_f16_sdwa v47, v12, v43 dst_sel:DWORD dst_unused:UNUSED_PAD src0_sel:WORD_1 src1_sel:DWORD
	v_fma_f16 v47, v12, v32, v47
	v_mul_f16_sdwa v32, v12, v32 dst_sel:DWORD dst_unused:UNUSED_PAD src0_sel:WORD_1 src1_sel:DWORD
	v_fma_f16 v32, v12, v43, -v32
	v_mul_f16_sdwa v43, v34, v13 dst_sel:DWORD dst_unused:UNUSED_PAD src0_sel:DWORD src1_sel:WORD_1
	v_fma_f16 v43, v21, v13, v43
	v_mul_f16_sdwa v21, v21, v13 dst_sel:DWORD dst_unused:UNUSED_PAD src0_sel:DWORD src1_sel:WORD_1
	v_fma_f16 v21, v34, v13, -v21
	v_mul_f16_sdwa v34, v35, v8 dst_sel:DWORD dst_unused:UNUSED_PAD src0_sel:DWORD src1_sel:WORD_1
	v_fma_f16 v34, v16, v8, v34
	v_mul_f16_sdwa v16, v16, v8 dst_sel:DWORD dst_unused:UNUSED_PAD src0_sel:DWORD src1_sel:WORD_1
	;; [unrolled: 4-line block ×3, first 2 shown]
	v_fma_f16 v42, v9, v42, -v48
	v_fma_f16 v9, v36, v9, -v18
	v_mul_f16_sdwa v18, v37, v10 dst_sel:DWORD dst_unused:UNUSED_PAD src0_sel:DWORD src1_sel:WORD_1
	v_fma_f16 v18, v22, v10, v18
	v_mul_f16_sdwa v22, v22, v10 dst_sel:DWORD dst_unused:UNUSED_PAD src0_sel:DWORD src1_sel:WORD_1
	v_fma_f16 v10, v37, v10, -v22
	v_mul_f16_sdwa v22, v38, v11 dst_sel:DWORD dst_unused:UNUSED_PAD src0_sel:DWORD src1_sel:WORD_1
	v_fma_f16 v22, v31, v11, v22
	v_mul_f16_sdwa v31, v31, v11 dst_sel:DWORD dst_unused:UNUSED_PAD src0_sel:DWORD src1_sel:WORD_1
	;; [unrolled: 4-line block ×4, first 2 shown]
	v_fma_f16 v13, v40, v13, -v33
	v_add_f16_e32 v33, v15, v43
	v_add_f16_e32 v35, v41, v21
	;; [unrolled: 1-line block ×4, first 2 shown]
	v_sub_f16_e32 v15, v15, v43
	v_sub_f16_e32 v21, v41, v21
	;; [unrolled: 1-line block ×4, first 2 shown]
	v_add_f16_e32 v38, v44, v46
	v_add_f16_e32 v39, v19, v23
	v_sub_f16_e32 v40, v46, v44
	v_sub_f16_e32 v19, v23, v19
	v_add_f16_e32 v23, v36, v33
	v_add_f16_e32 v41, v37, v35
	v_sub_f16_e32 v42, v36, v33
	v_sub_f16_e32 v43, v37, v35
	;; [unrolled: 1-line block ×6, first 2 shown]
	v_add_f16_e32 v44, v40, v17
	v_add_f16_e32 v46, v19, v32
	v_sub_f16_e32 v47, v40, v17
	v_sub_f16_e32 v48, v19, v32
	;; [unrolled: 1-line block ×4, first 2 shown]
	v_add_f16_e32 v23, v38, v23
	v_add_f16_e32 v38, v39, v41
	v_sub_f16_e32 v40, v15, v40
	v_sub_f16_e32 v19, v21, v19
	v_add_f16_e32 v15, v44, v15
	v_add_f16_e32 v21, v46, v21
	;; [unrolled: 1-line block ×3, first 2 shown]
	v_add_f16_sdwa v1, v38, v1 dst_sel:DWORD dst_unused:UNUSED_PAD src0_sel:DWORD src1_sel:WORD_1
	v_mul_f16_e32 v33, 0x3a52, v33
	v_mul_f16_e32 v35, 0x3a52, v35
	v_mul_f16_e32 v41, 0x2b26, v36
	v_mul_f16_e32 v44, 0x2b26, v37
	v_mul_f16_e32 v46, 0x3846, v47
	v_mul_f16_e32 v47, 0x3846, v48
	v_mul_f16_e32 v48, 0xbb00, v17
	v_mul_f16_e32 v49, 0xbb00, v32
	v_fma_f16 v23, v23, s5, v39
	v_fma_f16 v38, v38, s5, v1
	;; [unrolled: 1-line block ×4, first 2 shown]
	v_fma_f16 v41, v42, s6, -v41
	v_fma_f16 v44, v43, s6, -v44
	v_fma_f16 v33, v42, s7, -v33
	v_fma_f16 v35, v43, s7, -v35
	v_fma_f16 v42, v40, s9, v46
	v_fma_f16 v43, v19, s9, v47
	v_fma_f16 v17, v17, s1, -v46
	v_fma_f16 v40, v40, s10, -v48
	v_fma_f16 v19, v19, s10, -v49
	v_fma_f16 v32, v32, s1, -v47
	v_add_f16_e32 v36, v36, v23
	v_add_f16_e32 v37, v37, v38
	v_add_f16_e32 v41, v41, v23
	v_add_f16_e32 v44, v44, v38
	v_add_f16_e32 v23, v33, v23
	v_add_f16_e32 v33, v35, v38
	v_fma_f16 v35, v15, s11, v42
	v_fma_f16 v38, v21, s11, v43
	;; [unrolled: 1-line block ×6, first 2 shown]
	v_add_f16_e32 v21, v38, v36
	v_sub_f16_e32 v40, v37, v35
	v_add_f16_e32 v42, v19, v23
	v_sub_f16_e32 v43, v33, v15
	v_sub_f16_e32 v19, v23, v19
	v_add_f16_e32 v15, v15, v33
	v_sub_f16_e32 v23, v36, v38
	v_add_f16_e32 v33, v35, v37
	v_add_f16_e32 v35, v34, v20
	v_add_f16_e32 v36, v8, v13
	v_sub_f16_e32 v20, v34, v20
	v_sub_f16_e32 v8, v8, v13
	v_add_f16_e32 v13, v16, v31
	v_add_f16_e32 v34, v9, v12
	v_sub_f16_e32 v16, v16, v31
	v_sub_f16_e32 v9, v9, v12
	v_add_f16_e32 v12, v18, v22
	v_add_f16_e32 v31, v10, v11
	v_sub_f16_e32 v18, v22, v18
	v_sub_f16_e32 v10, v11, v10
	v_add_f16_e32 v11, v13, v35
	v_add_f16_e32 v22, v34, v36
	v_sub_f16_e32 v46, v41, v32
	v_add_f16_e32 v47, v17, v44
	v_add_f16_e32 v32, v32, v41
	v_sub_f16_e32 v17, v44, v17
	v_sub_f16_e32 v37, v13, v35
	;; [unrolled: 1-line block ×7, first 2 shown]
	v_add_f16_e32 v41, v18, v16
	v_add_f16_e32 v44, v10, v9
	v_sub_f16_e32 v48, v18, v16
	v_sub_f16_e32 v49, v10, v9
	;; [unrolled: 1-line block ×4, first 2 shown]
	v_add_f16_e32 v11, v12, v11
	v_add_f16_e32 v12, v31, v22
	v_sub_f16_e32 v18, v20, v18
	v_sub_f16_e32 v10, v8, v10
	v_add_f16_e32 v20, v41, v20
	v_add_f16_e32 v8, v44, v8
	;; [unrolled: 1-line block ×3, first 2 shown]
	v_add_f16_sdwa v14, v12, v14 dst_sel:DWORD dst_unused:UNUSED_PAD src0_sel:DWORD src1_sel:WORD_1
	v_mul_f16_e32 v31, 0x3a52, v35
	v_mul_f16_e32 v35, 0x3a52, v36
	;; [unrolled: 1-line block ×8, first 2 shown]
	v_fma_f16 v11, v11, s5, v22
	v_fma_f16 v12, v12, s5, v14
	v_fma_f16 v13, v13, s0, v31
	v_fma_f16 v34, v34, s0, v35
	v_fma_f16 v36, v37, s6, -v36
	v_fma_f16 v41, v38, s6, -v41
	;; [unrolled: 1-line block ×4, first 2 shown]
	v_fma_f16 v37, v18, s9, v44
	v_fma_f16 v38, v10, s9, v48
	v_fma_f16 v9, v9, s1, -v48
	v_fma_f16 v18, v18, s10, -v49
	v_fma_f16 v10, v10, s10, -v50
	v_add_f16_e32 v13, v13, v11
	v_add_f16_e32 v34, v34, v12
	;; [unrolled: 1-line block ×6, first 2 shown]
	v_fma_f16 v35, v8, s11, v38
	v_fma_f16 v9, v8, s11, v9
	;; [unrolled: 1-line block ×5, first 2 shown]
	v_add_f16_e32 v37, v8, v11
	v_sub_f16_e32 v38, v12, v18
	v_sub_f16_e32 v8, v11, v8
	v_add_f16_e32 v11, v18, v12
	v_pack_b32_f16 v1, v39, v1
	v_pack_b32_f16 v18, v21, v40
	ds_write2_b32 v27, v1, v18 offset1:34
	v_pack_b32_f16 v1, v42, v43
	v_pack_b32_f16 v18, v46, v47
	v_fma_f16 v16, v16, s1, -v44
	ds_write2_b32 v27, v1, v18 offset0:68 offset1:102
	v_pack_b32_f16 v1, v32, v17
	v_pack_b32_f16 v15, v19, v15
	v_fma_f16 v16, v20, s11, v16
	v_add_f16_e32 v10, v35, v13
	v_sub_f16_e32 v20, v34, v31
	ds_write2_b32 v27, v1, v15 offset0:136 offset1:170
	v_pack_b32_f16 v1, v23, v33
	v_pack_b32_f16 v14, v22, v14
	v_sub_f16_e32 v44, v36, v9
	v_add_f16_e32 v48, v16, v41
	v_add_f16_e32 v9, v9, v36
	v_sub_f16_e32 v16, v41, v16
	ds_write2_b32 v27, v1, v14 offset0:204 offset1:238
	v_pack_b32_f16 v1, v10, v20
	v_pack_b32_f16 v10, v37, v38
	v_sub_f16_e32 v12, v13, v35
	v_add_f16_e32 v13, v31, v34
	ds_write2_b32 v29, v1, v10 offset0:16 offset1:50
	v_pack_b32_f16 v1, v44, v48
	v_pack_b32_f16 v9, v9, v16
	v_add_co_u32_e64 v4, s[0:1], s8, v4
	ds_write2_b32 v29, v1, v9 offset0:84 offset1:118
	v_pack_b32_f16 v1, v8, v11
	v_pack_b32_f16 v8, v12, v13
	v_addc_co_u32_e64 v5, s[0:1], v45, v5, s[0:1]
	ds_write2_b32 v29, v1, v8 offset0:152 offset1:186
	s_waitcnt lgkmcnt(0)
	s_barrier
	global_load_dword v1, v[4:5], off offset:884
	v_add_co_u32_e64 v4, s[0:1], s8, v6
	v_addc_co_u32_e64 v5, s[0:1], v45, v7, s[0:1]
	global_load_dword v16, v[4:5], off offset:1020
	global_load_dword v17, v[4:5], off offset:1156
	;; [unrolled: 1-line block ×6, first 2 shown]
	v_add_u32_e32 v22, v28, v24
	ds_read2_b32 v[4:5], v30 offset0:110 offset1:144
	ds_read2_b32 v[6:7], v27 offset0:34 offset1:68
	;; [unrolled: 1-line block ×6, first 2 shown]
	ds_read_b32 v24, v26
	s_waitcnt vmcnt(6) lgkmcnt(6)
	v_pk_mul_f16 v23, v1, v4 op_sel:[0,1]
	v_pk_fma_f16 v26, v1, v4, v23 op_sel:[0,0,1] op_sel_hi:[1,1,0]
	v_pk_fma_f16 v1, v1, v4, v23 op_sel:[0,0,1] op_sel_hi:[1,0,0] neg_lo:[1,0,0] neg_hi:[1,0,0]
	v_bfi_b32 v1, s4, v26, v1
	s_waitcnt lgkmcnt(0)
	v_pk_add_f16 v1, v24, v1 neg_lo:[0,1] neg_hi:[0,1]
	ds_read_b32 v4, v27 offset:1768
	v_pk_fma_f16 v23, v24, 2.0, v1 op_sel_hi:[1,0,1] neg_lo:[0,0,1] neg_hi:[0,0,1]
	s_waitcnt vmcnt(5)
	v_pk_mul_f16 v24, v16, v5 op_sel:[0,1]
	v_pk_fma_f16 v26, v16, v5, v24 op_sel:[0,0,1] op_sel_hi:[1,1,0]
	v_pk_fma_f16 v5, v16, v5, v24 op_sel:[0,0,1] op_sel_hi:[1,0,0] neg_lo:[1,0,0] neg_hi:[1,0,0]
	s_waitcnt vmcnt(4)
	v_pk_mul_f16 v16, v17, v8 op_sel:[0,1]
	v_pk_fma_f16 v24, v17, v8, v16 op_sel:[0,0,1] op_sel_hi:[1,1,0]
	v_pk_fma_f16 v8, v17, v8, v16 op_sel:[0,0,1] op_sel_hi:[1,0,0] neg_lo:[1,0,0] neg_hi:[1,0,0]
	;; [unrolled: 4-line block ×3, first 2 shown]
	s_waitcnt vmcnt(1)
	v_pk_mul_f16 v16, v20, v12 op_sel:[0,1]
	v_bfi_b32 v9, s4, v17, v9
	v_pk_fma_f16 v17, v20, v12, v16 op_sel:[0,0,1] op_sel_hi:[1,1,0]
	v_pk_fma_f16 v12, v20, v12, v16 op_sel:[0,0,1] op_sel_hi:[1,0,0] neg_lo:[1,0,0] neg_hi:[1,0,0]
	s_waitcnt vmcnt(0)
	v_pk_mul_f16 v16, v13, v21 op_sel:[0,1]
	v_bfi_b32 v5, s4, v26, v5
	v_bfi_b32 v12, s4, v17, v12
	v_pk_fma_f16 v17, v13, v21, v16 op_sel:[0,0,1] op_sel_hi:[1,1,0]
	v_pk_fma_f16 v13, v13, v21, v16 op_sel:[0,0,1] op_sel_hi:[1,0,0] neg_lo:[0,0,1] neg_hi:[0,0,1]
	s_waitcnt lgkmcnt(0)
	v_pk_mul_f16 v16, v4, v19 op_sel:[0,1]
	v_pk_add_f16 v5, v6, v5 neg_lo:[0,1] neg_hi:[0,1]
	v_bfi_b32 v13, s4, v17, v13
	v_pk_fma_f16 v17, v4, v19, v16 op_sel:[0,0,1] op_sel_hi:[1,1,0]
	v_pk_fma_f16 v4, v4, v19, v16 op_sel:[0,0,1] op_sel_hi:[1,0,0] neg_lo:[0,0,1] neg_hi:[0,0,1]
	v_pk_fma_f16 v6, v6, 2.0, v5 op_sel_hi:[1,0,1] neg_lo:[0,0,1] neg_hi:[0,0,1]
	v_bfi_b32 v8, s4, v24, v8
	v_bfi_b32 v4, s4, v17, v4
	v_pk_add_f16 v8, v7, v8 neg_lo:[0,1] neg_hi:[0,1]
	v_pk_add_f16 v9, v10, v9 neg_lo:[0,1] neg_hi:[0,1]
	v_pk_add_f16 v12, v11, v12 neg_lo:[0,1] neg_hi:[0,1]
	v_pk_add_f16 v13, v14, v13 neg_lo:[0,1] neg_hi:[0,1]
	v_pk_add_f16 v4, v15, v4 neg_lo:[0,1] neg_hi:[0,1]
	s_barrier
	ds_write2_b32 v27, v23, v6 offset1:34
	v_add_u32_e32 v6, 0x400, v22
	v_pk_fma_f16 v7, v7, 2.0, v8 op_sel_hi:[1,0,1] neg_lo:[0,0,1] neg_hi:[0,0,1]
	v_pk_fma_f16 v10, v10, 2.0, v9 op_sel_hi:[1,0,1] neg_lo:[0,0,1] neg_hi:[0,0,1]
	;; [unrolled: 1-line block ×5, first 2 shown]
	ds_write2_b32 v6, v5, v8 offset0:16 offset1:50
	ds_write2_b32 v27, v7, v10 offset0:68 offset1:102
	;; [unrolled: 1-line block ×6, first 2 shown]
	s_waitcnt lgkmcnt(0)
	s_barrier
	s_and_saveexec_b64 s[0:1], vcc
	s_cbranch_execz .LBB0_20
; %bb.19:
	v_lshl_add_u32 v6, v0, 2, v25
	v_mov_b32_e32 v1, 0
	ds_read2_b32 v[4:5], v6 offset1:34
	v_mov_b32_e32 v7, s3
	v_add_co_u32_e32 v8, vcc, s2, v2
	v_addc_co_u32_e32 v7, vcc, v7, v3, vcc
	v_lshlrev_b64 v[2:3], 2, v[0:1]
	v_add_co_u32_e32 v2, vcc, v8, v2
	v_addc_co_u32_e32 v3, vcc, v7, v3, vcc
	s_waitcnt lgkmcnt(0)
	global_store_dword v[2:3], v4, off
	v_add_u32_e32 v2, 34, v0
	v_mov_b32_e32 v3, v1
	v_lshlrev_b64 v[2:3], 2, v[2:3]
	v_add_co_u32_e32 v2, vcc, v8, v2
	v_addc_co_u32_e32 v3, vcc, v7, v3, vcc
	global_store_dword v[2:3], v5, off
	v_add_u32_e32 v2, 0x44, v0
	v_mov_b32_e32 v3, v1
	ds_read2_b32 v[4:5], v6 offset0:68 offset1:102
	v_lshlrev_b64 v[2:3], 2, v[2:3]
	v_add_co_u32_e32 v2, vcc, v8, v2
	v_addc_co_u32_e32 v3, vcc, v7, v3, vcc
	s_waitcnt lgkmcnt(0)
	global_store_dword v[2:3], v4, off
	v_add_u32_e32 v2, 0x66, v0
	v_mov_b32_e32 v3, v1
	v_lshlrev_b64 v[2:3], 2, v[2:3]
	v_add_co_u32_e32 v2, vcc, v8, v2
	v_addc_co_u32_e32 v3, vcc, v7, v3, vcc
	global_store_dword v[2:3], v5, off
	v_add_u32_e32 v2, 0x88, v0
	v_mov_b32_e32 v3, v1
	ds_read2_b32 v[4:5], v6 offset0:136 offset1:170
	;; [unrolled: 14-line block ×3, first 2 shown]
	v_lshlrev_b64 v[2:3], 2, v[2:3]
	v_add_u32_e32 v6, 0x400, v6
	v_add_co_u32_e32 v2, vcc, v8, v2
	v_addc_co_u32_e32 v3, vcc, v7, v3, vcc
	s_waitcnt lgkmcnt(0)
	global_store_dword v[2:3], v4, off
	v_add_u32_e32 v2, 0xee, v0
	v_mov_b32_e32 v3, v1
	v_lshlrev_b64 v[2:3], 2, v[2:3]
	v_add_co_u32_e32 v2, vcc, v8, v2
	v_addc_co_u32_e32 v3, vcc, v7, v3, vcc
	global_store_dword v[2:3], v5, off
	v_add_u32_e32 v2, 0x110, v0
	v_mov_b32_e32 v3, v1
	ds_read2_b32 v[4:5], v6 offset0:16 offset1:50
	v_lshlrev_b64 v[2:3], 2, v[2:3]
	v_add_co_u32_e32 v2, vcc, v8, v2
	v_addc_co_u32_e32 v3, vcc, v7, v3, vcc
	s_waitcnt lgkmcnt(0)
	global_store_dword v[2:3], v4, off
	v_add_u32_e32 v2, 0x132, v0
	v_mov_b32_e32 v3, v1
	v_lshlrev_b64 v[2:3], 2, v[2:3]
	v_add_co_u32_e32 v2, vcc, v8, v2
	v_addc_co_u32_e32 v3, vcc, v7, v3, vcc
	global_store_dword v[2:3], v5, off
	v_add_u32_e32 v2, 0x154, v0
	v_mov_b32_e32 v3, v1
	ds_read2_b32 v[4:5], v6 offset0:84 offset1:118
	v_lshlrev_b64 v[2:3], 2, v[2:3]
	v_add_co_u32_e32 v2, vcc, v8, v2
	v_addc_co_u32_e32 v3, vcc, v7, v3, vcc
	s_waitcnt lgkmcnt(0)
	global_store_dword v[2:3], v4, off
	v_add_u32_e32 v2, 0x176, v0
	v_mov_b32_e32 v3, v1
	v_lshlrev_b64 v[2:3], 2, v[2:3]
	v_add_co_u32_e32 v2, vcc, v8, v2
	v_addc_co_u32_e32 v3, vcc, v7, v3, vcc
	global_store_dword v[2:3], v5, off
	v_add_u32_e32 v2, 0x198, v0
	v_mov_b32_e32 v3, v1
	v_lshlrev_b64 v[2:3], 2, v[2:3]
	ds_read2_b32 v[4:5], v6 offset0:152 offset1:186
	v_add_u32_e32 v0, 0x1ba, v0
	v_add_co_u32_e32 v2, vcc, v8, v2
	v_lshlrev_b64 v[0:1], 2, v[0:1]
	v_addc_co_u32_e32 v3, vcc, v7, v3, vcc
	v_add_co_u32_e32 v0, vcc, v8, v0
	v_addc_co_u32_e32 v1, vcc, v7, v1, vcc
	s_waitcnt lgkmcnt(0)
	global_store_dword v[2:3], v4, off
	global_store_dword v[0:1], v5, off
.LBB0_20:
	s_endpgm
	.section	.rodata,"a",@progbits
	.p2align	6, 0x0
	.amdhsa_kernel fft_rtc_back_len476_factors_17_2_7_2_wgs_102_tpt_34_halfLds_half_ip_CI_unitstride_sbrr_C2R_dirReg
		.amdhsa_group_segment_fixed_size 0
		.amdhsa_private_segment_fixed_size 0
		.amdhsa_kernarg_size 88
		.amdhsa_user_sgpr_count 6
		.amdhsa_user_sgpr_private_segment_buffer 1
		.amdhsa_user_sgpr_dispatch_ptr 0
		.amdhsa_user_sgpr_queue_ptr 0
		.amdhsa_user_sgpr_kernarg_segment_ptr 1
		.amdhsa_user_sgpr_dispatch_id 0
		.amdhsa_user_sgpr_flat_scratch_init 0
		.amdhsa_user_sgpr_private_segment_size 0
		.amdhsa_uses_dynamic_stack 0
		.amdhsa_system_sgpr_private_segment_wavefront_offset 0
		.amdhsa_system_sgpr_workgroup_id_x 1
		.amdhsa_system_sgpr_workgroup_id_y 0
		.amdhsa_system_sgpr_workgroup_id_z 0
		.amdhsa_system_sgpr_workgroup_info 0
		.amdhsa_system_vgpr_workitem_id 0
		.amdhsa_next_free_vgpr 114
		.amdhsa_next_free_sgpr 30
		.amdhsa_reserve_vcc 1
		.amdhsa_reserve_flat_scratch 0
		.amdhsa_float_round_mode_32 0
		.amdhsa_float_round_mode_16_64 0
		.amdhsa_float_denorm_mode_32 3
		.amdhsa_float_denorm_mode_16_64 3
		.amdhsa_dx10_clamp 1
		.amdhsa_ieee_mode 1
		.amdhsa_fp16_overflow 0
		.amdhsa_exception_fp_ieee_invalid_op 0
		.amdhsa_exception_fp_denorm_src 0
		.amdhsa_exception_fp_ieee_div_zero 0
		.amdhsa_exception_fp_ieee_overflow 0
		.amdhsa_exception_fp_ieee_underflow 0
		.amdhsa_exception_fp_ieee_inexact 0
		.amdhsa_exception_int_div_zero 0
	.end_amdhsa_kernel
	.text
.Lfunc_end0:
	.size	fft_rtc_back_len476_factors_17_2_7_2_wgs_102_tpt_34_halfLds_half_ip_CI_unitstride_sbrr_C2R_dirReg, .Lfunc_end0-fft_rtc_back_len476_factors_17_2_7_2_wgs_102_tpt_34_halfLds_half_ip_CI_unitstride_sbrr_C2R_dirReg
                                        ; -- End function
	.section	.AMDGPU.csdata,"",@progbits
; Kernel info:
; codeLenInByte = 11440
; NumSgprs: 34
; NumVgprs: 114
; ScratchSize: 0
; MemoryBound: 0
; FloatMode: 240
; IeeeMode: 1
; LDSByteSize: 0 bytes/workgroup (compile time only)
; SGPRBlocks: 4
; VGPRBlocks: 28
; NumSGPRsForWavesPerEU: 34
; NumVGPRsForWavesPerEU: 114
; Occupancy: 2
; WaveLimiterHint : 1
; COMPUTE_PGM_RSRC2:SCRATCH_EN: 0
; COMPUTE_PGM_RSRC2:USER_SGPR: 6
; COMPUTE_PGM_RSRC2:TRAP_HANDLER: 0
; COMPUTE_PGM_RSRC2:TGID_X_EN: 1
; COMPUTE_PGM_RSRC2:TGID_Y_EN: 0
; COMPUTE_PGM_RSRC2:TGID_Z_EN: 0
; COMPUTE_PGM_RSRC2:TIDIG_COMP_CNT: 0
	.type	__hip_cuid_206c29f081a9de21,@object ; @__hip_cuid_206c29f081a9de21
	.section	.bss,"aw",@nobits
	.globl	__hip_cuid_206c29f081a9de21
__hip_cuid_206c29f081a9de21:
	.byte	0                               ; 0x0
	.size	__hip_cuid_206c29f081a9de21, 1

	.ident	"AMD clang version 19.0.0git (https://github.com/RadeonOpenCompute/llvm-project roc-6.4.0 25133 c7fe45cf4b819c5991fe208aaa96edf142730f1d)"
	.section	".note.GNU-stack","",@progbits
	.addrsig
	.addrsig_sym __hip_cuid_206c29f081a9de21
	.amdgpu_metadata
---
amdhsa.kernels:
  - .args:
      - .actual_access:  read_only
        .address_space:  global
        .offset:         0
        .size:           8
        .value_kind:     global_buffer
      - .offset:         8
        .size:           8
        .value_kind:     by_value
      - .actual_access:  read_only
        .address_space:  global
        .offset:         16
        .size:           8
        .value_kind:     global_buffer
      - .actual_access:  read_only
        .address_space:  global
        .offset:         24
        .size:           8
        .value_kind:     global_buffer
      - .offset:         32
        .size:           8
        .value_kind:     by_value
      - .actual_access:  read_only
        .address_space:  global
        .offset:         40
        .size:           8
        .value_kind:     global_buffer
      - .actual_access:  read_only
        .address_space:  global
        .offset:         48
        .size:           8
        .value_kind:     global_buffer
      - .offset:         56
        .size:           4
        .value_kind:     by_value
      - .actual_access:  read_only
        .address_space:  global
        .offset:         64
        .size:           8
        .value_kind:     global_buffer
      - .actual_access:  read_only
        .address_space:  global
        .offset:         72
        .size:           8
        .value_kind:     global_buffer
      - .address_space:  global
        .offset:         80
        .size:           8
        .value_kind:     global_buffer
    .group_segment_fixed_size: 0
    .kernarg_segment_align: 8
    .kernarg_segment_size: 88
    .language:       OpenCL C
    .language_version:
      - 2
      - 0
    .max_flat_workgroup_size: 102
    .name:           fft_rtc_back_len476_factors_17_2_7_2_wgs_102_tpt_34_halfLds_half_ip_CI_unitstride_sbrr_C2R_dirReg
    .private_segment_fixed_size: 0
    .sgpr_count:     34
    .sgpr_spill_count: 0
    .symbol:         fft_rtc_back_len476_factors_17_2_7_2_wgs_102_tpt_34_halfLds_half_ip_CI_unitstride_sbrr_C2R_dirReg.kd
    .uniform_work_group_size: 1
    .uses_dynamic_stack: false
    .vgpr_count:     114
    .vgpr_spill_count: 0
    .wavefront_size: 64
amdhsa.target:   amdgcn-amd-amdhsa--gfx906
amdhsa.version:
  - 1
  - 2
...

	.end_amdgpu_metadata
